;; amdgpu-corpus repo=ROCm/rocFFT kind=compiled arch=gfx906 opt=O3
	.text
	.amdgcn_target "amdgcn-amd-amdhsa--gfx906"
	.amdhsa_code_object_version 6
	.protected	fft_rtc_fwd_len2040_factors_17_4_3_10_wgs_170_tpt_170_halfLds_half_op_CI_CI_unitstride_sbrr_R2C_dirReg ; -- Begin function fft_rtc_fwd_len2040_factors_17_4_3_10_wgs_170_tpt_170_halfLds_half_op_CI_CI_unitstride_sbrr_R2C_dirReg
	.globl	fft_rtc_fwd_len2040_factors_17_4_3_10_wgs_170_tpt_170_halfLds_half_op_CI_CI_unitstride_sbrr_R2C_dirReg
	.p2align	8
	.type	fft_rtc_fwd_len2040_factors_17_4_3_10_wgs_170_tpt_170_halfLds_half_op_CI_CI_unitstride_sbrr_R2C_dirReg,@function
fft_rtc_fwd_len2040_factors_17_4_3_10_wgs_170_tpt_170_halfLds_half_op_CI_CI_unitstride_sbrr_R2C_dirReg: ; @fft_rtc_fwd_len2040_factors_17_4_3_10_wgs_170_tpt_170_halfLds_half_op_CI_CI_unitstride_sbrr_R2C_dirReg
; %bb.0:
	s_load_dwordx4 s[8:11], s[4:5], 0x58
	s_load_dwordx4 s[12:15], s[4:5], 0x0
	;; [unrolled: 1-line block ×3, first 2 shown]
	v_mul_u32_u24_e32 v1, 0x182, v0
	v_mov_b32_e32 v3, 0
	v_mov_b32_e32 v7, 0
	s_waitcnt lgkmcnt(0)
	v_cmp_lt_u64_e64 s[0:1], s[14:15], 2
	v_add_u32_sdwa v9, s6, v1 dst_sel:DWORD dst_unused:UNUSED_PAD src0_sel:DWORD src1_sel:WORD_1
	v_mov_b32_e32 v10, v3
	s_and_b64 vcc, exec, s[0:1]
	v_mov_b32_e32 v8, 0
	s_cbranch_vccnz .LBB0_8
; %bb.1:
	s_load_dwordx2 s[0:1], s[4:5], 0x10
	s_add_u32 s2, s18, 8
	s_addc_u32 s3, s19, 0
	s_add_u32 s6, s16, 8
	s_addc_u32 s7, s17, 0
	v_mov_b32_e32 v7, 0
	s_waitcnt lgkmcnt(0)
	s_add_u32 s20, s0, 8
	v_mov_b32_e32 v8, 0
	v_mov_b32_e32 v1, v7
	s_addc_u32 s21, s1, 0
	s_mov_b64 s[22:23], 1
	v_mov_b32_e32 v2, v8
.LBB0_2:                                ; =>This Inner Loop Header: Depth=1
	s_load_dwordx2 s[24:25], s[20:21], 0x0
                                        ; implicit-def: $vgpr5_vgpr6
	s_waitcnt lgkmcnt(0)
	v_or_b32_e32 v4, s25, v10
	v_cmp_ne_u64_e32 vcc, 0, v[3:4]
	s_and_saveexec_b64 s[0:1], vcc
	s_xor_b64 s[26:27], exec, s[0:1]
	s_cbranch_execz .LBB0_4
; %bb.3:                                ;   in Loop: Header=BB0_2 Depth=1
	v_cvt_f32_u32_e32 v4, s24
	v_cvt_f32_u32_e32 v5, s25
	s_sub_u32 s0, 0, s24
	s_subb_u32 s1, 0, s25
	v_mac_f32_e32 v4, 0x4f800000, v5
	v_rcp_f32_e32 v4, v4
	v_mul_f32_e32 v4, 0x5f7ffffc, v4
	v_mul_f32_e32 v5, 0x2f800000, v4
	v_trunc_f32_e32 v5, v5
	v_mac_f32_e32 v4, 0xcf800000, v5
	v_cvt_u32_f32_e32 v5, v5
	v_cvt_u32_f32_e32 v4, v4
	v_mul_lo_u32 v6, s0, v5
	v_mul_hi_u32 v11, s0, v4
	v_mul_lo_u32 v13, s1, v4
	v_mul_lo_u32 v12, s0, v4
	v_add_u32_e32 v6, v11, v6
	v_add_u32_e32 v6, v6, v13
	v_mul_hi_u32 v11, v4, v12
	v_mul_lo_u32 v13, v4, v6
	v_mul_hi_u32 v15, v4, v6
	v_mul_hi_u32 v14, v5, v12
	v_mul_lo_u32 v12, v5, v12
	v_mul_hi_u32 v16, v5, v6
	v_add_co_u32_e32 v11, vcc, v11, v13
	v_addc_co_u32_e32 v13, vcc, 0, v15, vcc
	v_mul_lo_u32 v6, v5, v6
	v_add_co_u32_e32 v11, vcc, v11, v12
	v_addc_co_u32_e32 v11, vcc, v13, v14, vcc
	v_addc_co_u32_e32 v12, vcc, 0, v16, vcc
	v_add_co_u32_e32 v6, vcc, v11, v6
	v_addc_co_u32_e32 v11, vcc, 0, v12, vcc
	v_add_co_u32_e32 v4, vcc, v4, v6
	v_addc_co_u32_e32 v5, vcc, v5, v11, vcc
	v_mul_lo_u32 v6, s0, v5
	v_mul_hi_u32 v11, s0, v4
	v_mul_lo_u32 v12, s1, v4
	v_mul_lo_u32 v13, s0, v4
	v_add_u32_e32 v6, v11, v6
	v_add_u32_e32 v6, v6, v12
	v_mul_lo_u32 v14, v4, v6
	v_mul_hi_u32 v15, v4, v13
	v_mul_hi_u32 v16, v4, v6
	v_mul_hi_u32 v12, v5, v13
	v_mul_lo_u32 v13, v5, v13
	v_mul_hi_u32 v11, v5, v6
	v_add_co_u32_e32 v14, vcc, v15, v14
	v_addc_co_u32_e32 v15, vcc, 0, v16, vcc
	v_mul_lo_u32 v6, v5, v6
	v_add_co_u32_e32 v13, vcc, v14, v13
	v_addc_co_u32_e32 v12, vcc, v15, v12, vcc
	v_addc_co_u32_e32 v11, vcc, 0, v11, vcc
	v_add_co_u32_e32 v6, vcc, v12, v6
	v_addc_co_u32_e32 v11, vcc, 0, v11, vcc
	v_add_co_u32_e32 v6, vcc, v4, v6
	v_addc_co_u32_e32 v11, vcc, v5, v11, vcc
	v_mad_u64_u32 v[4:5], s[0:1], v9, v11, 0
	v_mul_hi_u32 v12, v9, v6
	v_add_co_u32_e32 v13, vcc, v12, v4
	v_addc_co_u32_e32 v14, vcc, 0, v5, vcc
	v_mad_u64_u32 v[4:5], s[0:1], v10, v6, 0
	v_mad_u64_u32 v[11:12], s[0:1], v10, v11, 0
	v_add_co_u32_e32 v4, vcc, v13, v4
	v_addc_co_u32_e32 v4, vcc, v14, v5, vcc
	v_addc_co_u32_e32 v5, vcc, 0, v12, vcc
	v_add_co_u32_e32 v11, vcc, v4, v11
	v_addc_co_u32_e32 v6, vcc, 0, v5, vcc
	v_mul_lo_u32 v12, s25, v11
	v_mul_lo_u32 v13, s24, v6
	v_mad_u64_u32 v[4:5], s[0:1], s24, v11, 0
	v_add3_u32 v5, v5, v13, v12
	v_sub_u32_e32 v12, v10, v5
	v_mov_b32_e32 v13, s25
	v_sub_co_u32_e32 v4, vcc, v9, v4
	v_subb_co_u32_e64 v12, s[0:1], v12, v13, vcc
	v_subrev_co_u32_e64 v13, s[0:1], s24, v4
	v_subbrev_co_u32_e64 v12, s[0:1], 0, v12, s[0:1]
	v_cmp_le_u32_e64 s[0:1], s25, v12
	v_cndmask_b32_e64 v14, 0, -1, s[0:1]
	v_cmp_le_u32_e64 s[0:1], s24, v13
	v_cndmask_b32_e64 v13, 0, -1, s[0:1]
	v_cmp_eq_u32_e64 s[0:1], s25, v12
	v_cndmask_b32_e64 v12, v14, v13, s[0:1]
	v_add_co_u32_e64 v13, s[0:1], 2, v11
	v_addc_co_u32_e64 v14, s[0:1], 0, v6, s[0:1]
	v_add_co_u32_e64 v15, s[0:1], 1, v11
	v_addc_co_u32_e64 v16, s[0:1], 0, v6, s[0:1]
	v_subb_co_u32_e32 v5, vcc, v10, v5, vcc
	v_cmp_ne_u32_e64 s[0:1], 0, v12
	v_cmp_le_u32_e32 vcc, s25, v5
	v_cndmask_b32_e64 v12, v16, v14, s[0:1]
	v_cndmask_b32_e64 v14, 0, -1, vcc
	v_cmp_le_u32_e32 vcc, s24, v4
	v_cndmask_b32_e64 v4, 0, -1, vcc
	v_cmp_eq_u32_e32 vcc, s25, v5
	v_cndmask_b32_e32 v4, v14, v4, vcc
	v_cmp_ne_u32_e32 vcc, 0, v4
	v_cndmask_b32_e64 v4, v15, v13, s[0:1]
	v_cndmask_b32_e32 v6, v6, v12, vcc
	v_cndmask_b32_e32 v5, v11, v4, vcc
.LBB0_4:                                ;   in Loop: Header=BB0_2 Depth=1
	s_andn2_saveexec_b64 s[0:1], s[26:27]
	s_cbranch_execz .LBB0_6
; %bb.5:                                ;   in Loop: Header=BB0_2 Depth=1
	v_cvt_f32_u32_e32 v4, s24
	s_sub_i32 s26, 0, s24
	v_rcp_iflag_f32_e32 v4, v4
	v_mul_f32_e32 v4, 0x4f7ffffe, v4
	v_cvt_u32_f32_e32 v4, v4
	v_mul_lo_u32 v5, s26, v4
	v_mul_hi_u32 v5, v4, v5
	v_add_u32_e32 v4, v4, v5
	v_mul_hi_u32 v4, v9, v4
	v_mul_lo_u32 v5, v4, s24
	v_add_u32_e32 v6, 1, v4
	v_sub_u32_e32 v5, v9, v5
	v_subrev_u32_e32 v11, s24, v5
	v_cmp_le_u32_e32 vcc, s24, v5
	v_cndmask_b32_e32 v5, v5, v11, vcc
	v_cndmask_b32_e32 v4, v4, v6, vcc
	v_add_u32_e32 v6, 1, v4
	v_cmp_le_u32_e32 vcc, s24, v5
	v_cndmask_b32_e32 v5, v4, v6, vcc
	v_mov_b32_e32 v6, v3
.LBB0_6:                                ;   in Loop: Header=BB0_2 Depth=1
	s_or_b64 exec, exec, s[0:1]
	v_mul_lo_u32 v4, v6, s24
	v_mul_lo_u32 v13, v5, s25
	v_mad_u64_u32 v[11:12], s[0:1], v5, s24, 0
	s_load_dwordx2 s[0:1], s[6:7], 0x0
	s_load_dwordx2 s[24:25], s[2:3], 0x0
	v_add3_u32 v4, v12, v13, v4
	v_sub_co_u32_e32 v9, vcc, v9, v11
	v_subb_co_u32_e32 v4, vcc, v10, v4, vcc
	s_waitcnt lgkmcnt(0)
	v_mul_lo_u32 v10, s0, v4
	v_mul_lo_u32 v11, s1, v9
	v_mad_u64_u32 v[7:8], s[0:1], s0, v9, v[7:8]
	s_add_u32 s22, s22, 1
	s_addc_u32 s23, s23, 0
	s_add_u32 s2, s2, 8
	v_mul_lo_u32 v4, s24, v4
	v_mul_lo_u32 v12, s25, v9
	v_mad_u64_u32 v[1:2], s[0:1], s24, v9, v[1:2]
	v_add3_u32 v8, v11, v8, v10
	s_addc_u32 s3, s3, 0
	v_mov_b32_e32 v9, s14
	s_add_u32 s6, s6, 8
	v_mov_b32_e32 v10, s15
	s_addc_u32 s7, s7, 0
	v_cmp_ge_u64_e32 vcc, s[22:23], v[9:10]
	s_add_u32 s20, s20, 8
	v_add3_u32 v2, v12, v2, v4
	s_addc_u32 s21, s21, 0
	s_cbranch_vccnz .LBB0_9
; %bb.7:                                ;   in Loop: Header=BB0_2 Depth=1
	v_mov_b32_e32 v10, v6
	v_mov_b32_e32 v9, v5
	s_branch .LBB0_2
.LBB0_8:
	v_mov_b32_e32 v1, v7
	v_mov_b32_e32 v5, v9
	;; [unrolled: 1-line block ×4, first 2 shown]
.LBB0_9:
	s_load_dwordx2 s[4:5], s[4:5], 0x28
	s_lshl_b64 s[6:7], s[14:15], 3
	s_add_u32 s2, s18, s6
	s_addc_u32 s3, s19, s7
                                        ; implicit-def: $vgpr3
	s_waitcnt lgkmcnt(0)
	v_cmp_gt_u64_e64 s[0:1], s[4:5], v[5:6]
	v_cmp_le_u64_e32 vcc, s[4:5], v[5:6]
	s_and_saveexec_b64 s[4:5], vcc
	s_xor_b64 s[4:5], exec, s[4:5]
; %bb.10:
	s_mov_b32 s14, 0x1818182
	v_mul_hi_u32 v3, v0, s14
                                        ; implicit-def: $vgpr7_vgpr8
	v_mul_u32_u24_e32 v3, 0xaa, v3
	v_sub_u32_e32 v3, v0, v3
                                        ; implicit-def: $vgpr0
; %bb.11:
	s_andn2_saveexec_b64 s[4:5], s[4:5]
	s_cbranch_execz .LBB0_13
; %bb.12:
	s_add_u32 s6, s16, s6
	s_addc_u32 s7, s17, s7
	s_load_dwordx2 s[6:7], s[6:7], 0x0
	s_mov_b32 s14, 0x1818182
	v_mul_hi_u32 v3, v0, s14
	v_lshlrev_b64 v[7:8], 2, v[7:8]
	s_waitcnt lgkmcnt(0)
	v_mul_lo_u32 v4, s7, v5
	v_mul_lo_u32 v11, s6, v6
	v_mad_u64_u32 v[9:10], s[6:7], s6, v5, 0
	v_mul_u32_u24_e32 v3, 0xaa, v3
	v_sub_u32_e32 v3, v0, v3
	v_add3_u32 v10, v10, v11, v4
	v_lshlrev_b64 v[9:10], 2, v[9:10]
	v_mov_b32_e32 v0, s9
	v_add_co_u32_e32 v4, vcc, s8, v9
	v_addc_co_u32_e32 v0, vcc, v0, v10, vcc
	v_add_co_u32_e32 v4, vcc, v4, v7
	v_addc_co_u32_e32 v0, vcc, v0, v8, vcc
	v_lshlrev_b32_e32 v11, 2, v3
	v_add_co_u32_e32 v7, vcc, v4, v11
	v_addc_co_u32_e32 v8, vcc, 0, v0, vcc
	v_add_co_u32_e32 v9, vcc, 0x1000, v7
	v_addc_co_u32_e32 v10, vcc, 0, v8, vcc
	global_load_dword v0, v[7:8], off
	global_load_dword v4, v[7:8], off offset:680
	global_load_dword v12, v[7:8], off offset:1360
	;; [unrolled: 1-line block ×11, first 2 shown]
	v_add_u32_e32 v7, 0, v11
	v_add_u32_e32 v8, 0x400, v7
	;; [unrolled: 1-line block ×6, first 2 shown]
	s_waitcnt vmcnt(10)
	ds_write2_b32 v7, v0, v4 offset1:170
	s_waitcnt vmcnt(8)
	ds_write2_b32 v8, v12, v13 offset0:84 offset1:254
	s_waitcnt vmcnt(6)
	ds_write2_b32 v9, v14, v15 offset0:40 offset1:210
	;; [unrolled: 2-line block ×5, first 2 shown]
.LBB0_13:
	s_or_b64 exec, exec, s[4:5]
	v_lshl_add_u32 v0, v3, 2, 0
	s_waitcnt lgkmcnt(0)
	s_barrier
	ds_read2_b32 v[14:15], v0 offset1:120
	ds_read_b32 v37, v0 offset:7680
	v_add_u32_e32 v32, 0x1a00, v0
	v_add_u32_e32 v4, 0x200, v0
	ds_read2_b32 v[12:13], v32 offset0:16 offset1:136
	ds_read2_b32 v[16:17], v4 offset0:112 offset1:232
	s_waitcnt lgkmcnt(2)
	v_pk_add_f16 v35, v15, v37 neg_lo:[0,1] neg_hi:[0,1]
	s_mov_b32 s25, 0xbbf7
	v_pk_add_f16 v36, v37, v15
	s_movk_i32 s7, 0x2de8
	v_mul_f16_sdwa v45, v35, s25 dst_sel:DWORD dst_unused:UNUSED_PAD src0_sel:WORD_1 src1_sel:DWORD
	s_waitcnt lgkmcnt(0)
	v_pk_add_f16 v38, v16, v13 neg_lo:[0,1] neg_hi:[0,1]
	s_mov_b32 s9, 0xb1e1
	v_fma_f16 v4, v36, s7, v45
	s_mov_b32 s6, 0xbbb2
	v_pk_add_f16 v39, v13, v16
	s_mov_b32 s14, 0xbbdd
	v_mul_f16_sdwa v47, v38, s9 dst_sel:DWORD dst_unused:UNUSED_PAD src0_sel:WORD_1 src1_sel:DWORD
	v_add_f16_e32 v4, v14, v4
	s_mov_b32 s8, 0xb461
	v_mul_f16_sdwa v48, v35, s6 dst_sel:DWORD dst_unused:UNUSED_PAD src0_sel:WORD_1 src1_sel:DWORD
	v_fma_f16 v7, v39, s14, v47
	s_movk_i32 s27, 0x3836
	v_add_f16_e32 v4, v7, v4
	v_fma_f16 v7, v36, s8, v48
	s_mov_b32 s15, 0xbacd
	v_mul_f16_sdwa v53, v38, s27 dst_sel:DWORD dst_unused:UNUSED_PAD src0_sel:WORD_1 src1_sel:DWORD
	s_movk_i32 s26, 0x3bb2
	v_pk_add_f16 v40, v17, v12 neg_lo:[0,1] neg_hi:[0,1]
	v_add_f16_e32 v7, v14, v7
	v_fma_f16 v8, v39, s15, v53
	v_pk_add_f16 v41, v12, v17
	v_mul_f16_sdwa v51, v40, s26 dst_sel:DWORD dst_unused:UNUSED_PAD src0_sel:WORD_1 src1_sel:DWORD
	v_add_f16_e32 v7, v8, v7
	v_fma_f16 v8, v41, s8, v51
	v_add_f16_e32 v4, v8, v4
	v_add_u32_e32 v8, 0x1600, v0
	v_add_u32_e32 v33, 0x600, v0
	ds_read2_b32 v[18:19], v8 offset0:32 offset1:152
	ds_read2_b32 v[20:21], v33 offset0:96 offset1:216
	s_movk_i32 s16, 0x3964
	s_movk_i32 s17, 0x39e9
	v_mul_f16_sdwa v57, v40, s16 dst_sel:DWORD dst_unused:UNUSED_PAD src0_sel:WORD_1 src1_sel:DWORD
	s_movk_i32 s18, 0x35c8
	s_waitcnt lgkmcnt(0)
	v_pk_add_f16 v42, v20, v19 neg_lo:[0,1] neg_hi:[0,1]
	v_fma_f16 v8, v41, s17, v57
	s_movk_i32 s20, 0x3b76
	v_pk_add_f16 v44, v19, v20
	v_mul_f16_sdwa v58, v42, s18 dst_sel:DWORD dst_unused:UNUSED_PAD src0_sel:WORD_1 src1_sel:DWORD
	s_mov_b32 s28, 0xbb29
	v_add_f16_e32 v7, v8, v7
	v_fma_f16 v8, v44, s20, v58
	s_movk_i32 s19, 0x3722
	v_mul_f16_sdwa v60, v42, s28 dst_sel:DWORD dst_unused:UNUSED_PAD src0_sel:WORD_1 src1_sel:DWORD
	v_pk_add_f16 v43, v21, v18 neg_lo:[0,1] neg_hi:[0,1]
	v_add_f16_e32 v4, v8, v4
	v_fma_f16 v8, v44, s19, v60
	v_pk_add_f16 v46, v18, v21
	v_mul_f16_sdwa v59, v43, s28 dst_sel:DWORD dst_unused:UNUSED_PAD src0_sel:WORD_1 src1_sel:DWORD
	v_add_f16_e32 v7, v8, v7
	v_fma_f16 v8, v46, s19, v59
	v_add_f16_e32 v4, v8, v4
	v_add_u32_e32 v8, 0x1200, v0
	v_add_u32_e32 v34, 0xa00, v0
	ds_read2_b32 v[22:23], v8 offset0:48 offset1:168
	ds_read2_b32 v[24:25], v34 offset0:80 offset1:200
	v_mul_f16_sdwa v62, v43, s9 dst_sel:DWORD dst_unused:UNUSED_PAD src0_sel:WORD_1 src1_sel:DWORD
	s_mov_b32 s22, 0xb836
	v_fma_f16 v8, v46, s14, v62
	s_movk_i32 s21, 0x3bf7
	s_waitcnt lgkmcnt(0)
	v_pk_add_f16 v49, v24, v23 neg_lo:[0,1] neg_hi:[0,1]
	v_pk_add_f16 v50, v23, v24
	v_mul_f16_sdwa v61, v49, s22 dst_sel:DWORD dst_unused:UNUSED_PAD src0_sel:WORD_1 src1_sel:DWORD
	v_add_f16_e32 v7, v8, v7
	v_fma_f16 v8, v50, s15, v61
	v_mul_f16_sdwa v64, v49, s21 dst_sel:DWORD dst_unused:UNUSED_PAD src0_sel:WORD_1 src1_sel:DWORD
	s_movk_i32 s30, 0x3a62
	v_pk_add_f16 v52, v25, v22 neg_lo:[0,1] neg_hi:[0,1]
	v_add_f16_e32 v4, v8, v4
	v_fma_f16 v8, v50, s7, v64
	s_mov_b32 s23, 0xb8d2
	v_pk_add_f16 v54, v22, v25
	v_mul_f16_sdwa v63, v52, s30 dst_sel:DWORD dst_unused:UNUSED_PAD src0_sel:WORD_1 src1_sel:DWORD
	v_add_f16_e32 v7, v8, v7
	v_fma_f16 v8, v54, s23, v63
	v_add_f16_e32 v4, v8, v4
	v_add_u32_e32 v8, 0xe00, v0
	ds_read2_b32 v[26:27], v8 offset0:64 offset1:184
	s_mov_b32 s29, 0xb5c8
	v_mul_f16_sdwa v70, v52, s29 dst_sel:DWORD dst_unused:UNUSED_PAD src0_sel:WORD_1 src1_sel:DWORD
	v_fma_f16 v8, v54, s20, v70
	s_mov_b32 s24, 0xba62
	s_waitcnt lgkmcnt(0)
	v_pk_add_f16 v55, v26, v27 neg_lo:[0,1] neg_hi:[0,1]
	v_pk_add_f16 v56, v27, v26
	v_mul_f16_sdwa v71, v55, s16 dst_sel:DWORD dst_unused:UNUSED_PAD src0_sel:WORD_1 src1_sel:DWORD
	v_add_f16_e32 v7, v8, v7
	v_fma_f16 v8, v56, s17, v71
	v_mul_f16_sdwa v82, v55, s24 dst_sel:DWORD dst_unused:UNUSED_PAD src0_sel:WORD_1 src1_sel:DWORD
	v_add_f16_e32 v8, v8, v4
	v_fma_f16 v4, v56, s23, v82
	v_mul_f16_sdwa v65, v35, s29 dst_sel:DWORD dst_unused:UNUSED_PAD src0_sel:WORD_1 src1_sel:DWORD
	s_mov_b32 s33, 0xb964
	v_add_f16_e32 v7, v4, v7
	v_fma_f16 v4, v36, s20, v65
	v_mul_f16_sdwa v66, v38, s33 dst_sel:DWORD dst_unused:UNUSED_PAD src0_sel:WORD_1 src1_sel:DWORD
	v_add_f16_e32 v4, v14, v4
	v_fma_f16 v9, v39, s17, v66
	v_lshrrev_b32_e32 v129, 16, v36
	v_mul_f16_e32 v67, 0xb964, v35
	v_add_f16_e32 v4, v9, v4
	v_fma_f16 v9, v129, s17, -v67
	v_lshrrev_b32_e32 v131, 16, v39
	v_mul_f16_e32 v68, 0xbbf7, v38
	v_add_f16_sdwa v9, v14, v9 dst_sel:DWORD dst_unused:UNUSED_PAD src0_sel:WORD_1 src1_sel:DWORD
	v_fma_f16 v10, v131, s7, -v68
	v_mul_f16_sdwa v73, v35, s28 dst_sel:DWORD dst_unused:UNUSED_PAD src0_sel:WORD_1 src1_sel:DWORD
	v_add_f16_e32 v9, v10, v9
	v_fma_f16 v10, v36, s19, v73
	v_mul_f16_sdwa v74, v38, s24 dst_sel:DWORD dst_unused:UNUSED_PAD src0_sel:WORD_1 src1_sel:DWORD
	v_add_f16_e32 v10, v14, v10
	v_fma_f16 v11, v39, s23, v74
	v_mul_f16_e32 v77, 0xbb29, v35
	v_add_f16_e32 v10, v11, v10
	v_fma_f16 v11, v129, s19, -v77
	v_mul_f16_e32 v78, 0xba62, v38
	v_add_f16_sdwa v11, v14, v11 dst_sel:DWORD dst_unused:UNUSED_PAD src0_sel:WORD_1 src1_sel:DWORD
	v_fma_f16 v28, v131, s23, -v78
	v_mul_f16_e32 v87, 0xbbf7, v35
	v_add_f16_e32 v11, v28, v11
	v_fma_f16 v28, v129, s7, -v87
	v_mul_f16_e32 v89, 0xb1e1, v38
	v_add_f16_sdwa v28, v14, v28 dst_sel:DWORD dst_unused:UNUSED_PAD src0_sel:WORD_1 src1_sel:DWORD
	v_fma_f16 v29, v131, s14, -v89
	;; [unrolled: 6-line block ×3, first 2 shown]
	v_mul_f16_sdwa v69, v40, s28 dst_sel:DWORD dst_unused:UNUSED_PAD src0_sel:WORD_1 src1_sel:DWORD
	v_add_f16_e32 v29, v30, v29
	v_fma_f16 v30, v41, s19, v69
	v_lshrrev_b32_e32 v133, 16, v41
	v_mul_f16_e32 v75, 0xba62, v40
	s_movk_i32 s34, 0x31e1
	v_add_f16_e32 v4, v30, v4
	v_fma_f16 v30, v133, s23, -v75
	v_mul_f16_sdwa v80, v40, s34 dst_sel:DWORD dst_unused:UNUSED_PAD src0_sel:WORD_1 src1_sel:DWORD
	v_add_f16_e32 v9, v30, v9
	v_fma_f16 v30, v41, s14, v80
	v_mul_f16_e32 v85, 0x31e1, v40
	v_add_f16_e32 v10, v30, v10
	v_fma_f16 v30, v133, s14, -v85
	v_mul_f16_e32 v95, 0x3bb2, v40
	v_add_f16_e32 v11, v30, v11
	v_fma_f16 v30, v133, s8, -v95
	v_mul_f16_e32 v110, 0x3964, v40
	v_add_f16_e32 v28, v30, v28
	v_fma_f16 v30, v133, s17, -v110
	v_mul_f16_sdwa v72, v42, s25 dst_sel:DWORD dst_unused:UNUSED_PAD src0_sel:WORD_1 src1_sel:DWORD
	v_add_f16_e32 v29, v30, v29
	v_fma_f16 v30, v44, s7, v72
	v_lshrrev_b32_e32 v134, 16, v44
	v_mul_f16_e32 v79, 0xb1e1, v42
	v_add_f16_e32 v4, v30, v4
	v_fma_f16 v30, v134, s14, -v79
	v_mul_f16_sdwa v84, v42, s26 dst_sel:DWORD dst_unused:UNUSED_PAD src0_sel:WORD_1 src1_sel:DWORD
	v_add_f16_e32 v9, v30, v9
	v_fma_f16 v30, v44, s8, v84
	v_mul_f16_e32 v91, 0x3bb2, v42
	v_add_f16_e32 v10, v30, v10
	v_fma_f16 v30, v134, s8, -v91
	v_mul_f16_e32 v100, 0x35c8, v42
	v_add_f16_e32 v11, v30, v11
	v_fma_f16 v30, v134, s20, -v100
	v_mul_f16_e32 v114, 0xbb29, v42
	v_add_f16_e32 v28, v30, v28
	v_fma_f16 v30, v134, s19, -v114
	v_mul_f16_sdwa v76, v43, s6 dst_sel:DWORD dst_unused:UNUSED_PAD src0_sel:WORD_1 src1_sel:DWORD
	v_add_f16_e32 v29, v30, v29
	v_fma_f16 v30, v46, s8, v76
	v_lshrrev_b32_e32 v136, 16, v46
	v_mul_f16_e32 v83, 0x3836, v43
	;; [unrolled: 19-line block ×4, first 2 shown]
	v_add_f16_e32 v31, v30, v4
	v_fma_f16 v4, v138, s19, -v92
	v_mul_f16_sdwa v96, v52, s25 dst_sel:DWORD dst_unused:UNUSED_PAD src0_sel:WORD_1 src1_sel:DWORD
	v_add_f16_e32 v4, v4, v9
	v_fma_f16 v9, v54, s7, v96
	v_mul_f16_e32 v107, 0xbbf7, v52
	v_add_f16_e32 v9, v9, v10
	v_fma_f16 v10, v138, s7, -v107
	v_mul_f16_e32 v125, 0x3a62, v52
	v_add_f16_e32 v11, v10, v11
	v_fma_f16 v10, v138, s23, -v125
	v_mul_f16_sdwa v123, v55, s22 dst_sel:DWORD dst_unused:UNUSED_PAD src0_sel:WORD_1 src1_sel:DWORD
	v_add_f16_e32 v112, v10, v28
	v_fma_f16 v28, v56, s15, v123
	v_lshrrev_b32_e32 v139, 16, v56
	v_mul_f16_e32 v115, 0x35c8, v55
	v_add_f16_e32 v9, v28, v9
	v_fma_f16 v28, v139, s20, -v115
	v_mul_f16_e32 v128, 0xb836, v55
	v_mul_f16_e32 v130, 0xb5c8, v52
	v_add_f16_e32 v28, v28, v4
	v_fma_f16 v4, v139, s15, -v128
	v_mul_f16_e32 v132, 0x3964, v55
	v_fma_f16 v10, v138, s20, -v130
	s_mov_b32 s4, 0x3b7639e9
	v_add_f16_e32 v30, v4, v11
	v_fma_f16 v4, v139, s17, -v132
	v_mul_f16_e32 v135, 0xba62, v55
	v_add_f16_e32 v29, v10, v29
	s_mov_b32 s5, 0xb964b5c8
	s_mov_b32 s31, 0x39e92de8
	v_pk_mul_f16 v116, v36, s4
	v_add_f16_e32 v4, v4, v112
	v_fma_f16 v11, v139, s23, -v135
	v_mul_f16_sdwa v112, v55, s9 dst_sel:DWORD dst_unused:UNUSED_PAD src0_sel:WORD_1 src1_sel:DWORD
	s_mov_b32 s35, 0xbbf7b964
	s_mov_b32 s36, 0x3722b8d2
	v_pk_fma_f16 v101, v35, s5, v116 op_sel:[0,0,1] op_sel_hi:[1,1,0]
	v_pk_mul_f16 v117, v39, s31
	v_add_f16_e32 v29, v11, v29
	v_pk_fma_f16 v116, v35, s5, v116 op_sel:[0,0,1] op_sel_hi:[1,1,0] neg_lo:[1,0,0] neg_hi:[1,0,0]
	v_fma_f16 v11, v56, s14, v112
	s_mov_b32 s37, 0xba62bb29
	s_mov_b32 s38, 0x2de8bbdd
	v_pk_fma_f16 v102, v38, s35, v117 op_sel:[0,0,1] op_sel_hi:[1,1,0]
	v_add_f16_sdwa v10, v14, v101 dst_sel:DWORD dst_unused:UNUSED_PAD src0_sel:DWORD src1_sel:WORD_1
	v_pk_mul_f16 v118, v41, s36
	v_pk_fma_f16 v117, v38, s35, v117 op_sel:[0,0,1] op_sel_hi:[1,1,0] neg_lo:[1,0,0] neg_hi:[1,0,0]
	v_add_f16_e32 v11, v11, v31
	v_add_f16_sdwa v31, v14, v116 dst_sel:DWORD dst_unused:UNUSED_PAD src0_sel:WORD_1 src1_sel:DWORD
	s_mov_b32 s39, 0xb1e1bbf7
	s_mov_b32 s40, 0xb461bacd
	v_add_f16_sdwa v10, v102, v10 dst_sel:DWORD dst_unused:UNUSED_PAD src0_sel:WORD_1 src1_sel:DWORD
	v_pk_fma_f16 v103, v40, s37, v118 op_sel:[0,0,1] op_sel_hi:[1,1,0]
	v_pk_mul_f16 v119, v44, s38
	v_pk_fma_f16 v118, v40, s37, v118 op_sel:[0,0,1] op_sel_hi:[1,1,0] neg_lo:[1,0,0] neg_hi:[1,0,0]
	v_add_f16_e32 v31, v117, v31
	s_mov_b32 s41, 0x3836bbb2
	s_mov_b32 s42, 0xb8d2b461
	v_add_f16_sdwa v10, v103, v10 dst_sel:DWORD dst_unused:UNUSED_PAD src0_sel:WORD_1 src1_sel:DWORD
	v_pk_fma_f16 v104, v42, s39, v119 op_sel:[0,0,1] op_sel_hi:[1,1,0]
	v_pk_mul_f16 v120, v46, s40
	v_pk_fma_f16 v119, v42, s39, v119 op_sel:[0,0,1] op_sel_hi:[1,1,0] neg_lo:[1,0,0] neg_hi:[1,0,0]
	v_add_f16_e32 v31, v118, v31
	;; [unrolled: 7-line block ×4, first 2 shown]
	s_mov_b32 s47, 0x35c8b1e1
	v_add_f16_sdwa v10, v106, v10 dst_sel:DWORD dst_unused:UNUSED_PAD src0_sel:WORD_1 src1_sel:DWORD
	v_pk_fma_f16 v109, v52, s45, v122 op_sel:[0,0,1] op_sel_hi:[1,1,0]
	v_pk_mul_f16 v124, v56, s46
	v_pk_fma_f16 v122, v52, s45, v122 op_sel:[0,0,1] op_sel_hi:[1,1,0] neg_lo:[1,0,0] neg_hi:[1,0,0]
	v_add_f16_e32 v31, v121, v31
	v_add_f16_sdwa v10, v109, v10 dst_sel:DWORD dst_unused:UNUSED_PAD src0_sel:WORD_1 src1_sel:DWORD
	v_pk_fma_f16 v111, v55, s47, v124 op_sel:[0,0,1] op_sel_hi:[1,1,0]
	v_pk_fma_f16 v124, v55, s47, v124 op_sel:[0,0,1] op_sel_hi:[1,1,0] neg_lo:[1,0,0] neg_hi:[1,0,0]
	v_add_f16_e32 v31, v122, v31
	s_movk_i32 s4, 0x78
	v_add_f16_sdwa v10, v111, v10 dst_sel:DWORD dst_unused:UNUSED_PAD src0_sel:WORD_1 src1_sel:DWORD
	s_movk_i32 s31, 0x3b29
	v_add_f16_e32 v31, v124, v31
	v_cmp_gt_u32_e32 vcc, s4, v3
	s_barrier
	s_and_saveexec_b64 s[4:5], vcc
	s_cbranch_execz .LBB0_15
; %bb.14:
	v_mul_f16_e32 v205, 0xb8d2, v129
	v_fma_f16 v206, v35, s30, v205
	v_mul_f16_e32 v207, 0xb461, v131
	v_add_f16_sdwa v206, v14, v206 dst_sel:DWORD dst_unused:UNUSED_PAD src0_sel:WORD_1 src1_sel:DWORD
	v_fma_f16 v208, v38, s6, v207
	v_add_f16_e32 v206, v208, v206
	v_mul_f16_e32 v208, 0x3b76, v133
	v_fma_f16 v209, v40, s18, v208
	v_add_f16_e32 v206, v209, v206
	v_mul_f16_e32 v209, 0xbacd, v134
	;; [unrolled: 3-line block ×6, first 2 shown]
	v_fma_f16 v214, v55, s28, v213
	v_add_f16_e32 v206, v214, v206
	v_mul_f16_sdwa v214, v35, s24 dst_sel:DWORD dst_unused:UNUSED_PAD src0_sel:WORD_1 src1_sel:DWORD
	v_fma_f16 v215, v36, s23, v214
	v_mul_f16_sdwa v216, v38, s26 dst_sel:DWORD dst_unused:UNUSED_PAD src0_sel:WORD_1 src1_sel:DWORD
	v_add_f16_e32 v215, v14, v215
	v_fma_f16 v217, v39, s8, v216
	v_add_f16_e32 v215, v217, v215
	v_mul_f16_sdwa v217, v40, s29 dst_sel:DWORD dst_unused:UNUSED_PAD src0_sel:WORD_1 src1_sel:DWORD
	v_fma_f16 v218, v41, s20, v217
	v_add_f16_e32 v215, v218, v215
	v_mul_f16_sdwa v218, v42, s22 dst_sel:DWORD dst_unused:UNUSED_PAD src0_sel:WORD_1 src1_sel:DWORD
	;; [unrolled: 3-line block ×6, first 2 shown]
	v_mul_f16_e32 v142, 0x39e9, v129
	v_mul_f16_e32 v144, 0x3722, v129
	;; [unrolled: 1-line block ×4, first 2 shown]
	v_fma_f16 v223, v56, s19, v222
	v_mul_f16_e32 v129, 0xbacd, v129
	v_mul_f16_e32 v150, 0x2de8, v131
	v_mul_f16_e32 v152, 0xb8d2, v131
	v_mul_f16_e32 v154, 0xbbdd, v131
	v_mul_f16_e32 v156, 0xbacd, v131
	v_add_f16_e32 v215, v223, v215
	v_fma_f16 v223, v35, s27, v129
	v_mul_f16_e32 v131, 0x3722, v131
	v_mul_f16_e32 v158, 0xb8d2, v133
	;; [unrolled: 1-line block ×5, first 2 shown]
	v_add_f16_sdwa v223, v14, v223 dst_sel:DWORD dst_unused:UNUSED_PAD src0_sel:WORD_1 src1_sel:DWORD
	v_fma_f16 v224, v38, s28, v131
	v_mul_f16_e32 v133, 0x2de8, v133
	v_mul_f16_e32 v166, 0xbbdd, v134
	v_mul_f16_e32 v168, 0xb461, v134
	v_mul_f16_e32 v170, 0x3b76, v134
	v_mul_f16_e32 v172, 0x3722, v134
	v_add_f16_e32 v223, v224, v223
	v_fma_f16 v224, v40, s21, v133
	v_mul_f16_e32 v134, 0xb8d2, v134
	v_mul_f16_e32 v174, 0xbacd, v136
	v_mul_f16_e32 v176, 0x39e9, v136
	v_mul_f16_e32 v178, 0x3722, v136
	v_mul_f16_e32 v180, 0xbbdd, v136
	v_add_f16_e32 v223, v224, v223
	;; [unrolled: 7-line block ×4, first 2 shown]
	v_fma_f16 v224, v49, s34, v137
	v_mul_f16_e32 v138, 0x39e9, v138
	v_mul_f16_e32 v145, 0x2de8, v36
	;; [unrolled: 1-line block ×6, first 2 shown]
	v_add_f16_e32 v223, v224, v223
	v_fma_f16 v224, v52, s33, v138
	v_mul_f16_e32 v139, 0xb461, v139
	v_mul_f16_e32 v147, 0xb461, v36
	;; [unrolled: 1-line block ×3, first 2 shown]
	v_add_f16_e32 v223, v224, v223
	v_fma_f16 v224, v55, s26, v139
	v_fma_f16 v129, v35, s22, v129
	v_sub_f16_e32 v45, v145, v45
	v_mul_f16_e32 v155, 0xbacd, v39
	v_mul_f16_e32 v161, 0xb461, v41
	v_add_f16_e32 v223, v224, v223
	v_mul_f16_sdwa v224, v35, s22 dst_sel:DWORD dst_unused:UNUSED_PAD src0_sel:WORD_1 src1_sel:DWORD
	v_add_f16_sdwa v129, v14, v129 dst_sel:DWORD dst_unused:UNUSED_PAD src0_sel:WORD_1 src1_sel:DWORD
	v_fma_f16 v131, v38, s31, v131
	v_sub_f16_e32 v48, v147, v48
	v_add_f16_e32 v45, v14, v45
	v_sub_f16_e32 v47, v153, v47
	v_mul_f16_e32 v163, 0x39e9, v41
	v_mul_f16_e32 v169, 0x3b76, v44
	v_fma_f16 v225, v36, s15, v224
	v_mul_f16_sdwa v226, v38, s31 dst_sel:DWORD dst_unused:UNUSED_PAD src0_sel:WORD_1 src1_sel:DWORD
	v_add_f16_e32 v129, v131, v129
	v_fma_f16 v131, v40, s25, v133
	v_add_f16_e32 v48, v14, v48
	v_sub_f16_e32 v53, v155, v53
	v_add_f16_e32 v45, v47, v45
	v_sub_f16_e32 v47, v161, v51
	v_mul_f16_e32 v171, 0x3722, v44
	v_mul_f16_e32 v177, 0x3722, v46
	v_add_f16_e32 v225, v14, v225
	v_fma_f16 v227, v39, s19, v226
	v_add_f16_e32 v129, v131, v129
	v_fma_f16 v131, v42, s30, v134
	v_add_f16_e32 v48, v53, v48
	v_sub_f16_e32 v53, v163, v57
	v_add_f16_e32 v45, v47, v45
	v_sub_f16_e32 v47, v169, v58
	v_mul_f16_e32 v179, 0xbbdd, v46
	v_mul_f16_e32 v185, 0xbacd, v50
	v_add_f16_e32 v225, v227, v225
	v_mul_f16_sdwa v227, v40, s25 dst_sel:DWORD dst_unused:UNUSED_PAD src0_sel:WORD_1 src1_sel:DWORD
	v_add_f16_e32 v129, v131, v129
	v_fma_f16 v131, v43, s29, v136
	v_add_f16_e32 v48, v53, v48
	v_sub_f16_e32 v53, v171, v60
	v_add_f16_e32 v45, v47, v45
	v_sub_f16_e32 v47, v177, v59
	v_mul_f16_e32 v187, 0x2de8, v50
	v_mul_f16_e32 v193, 0xb8d2, v54
	v_fma_f16 v228, v41, s7, v227
	v_add_f16_e32 v129, v131, v129
	v_fma_f16 v131, v49, s9, v137
	v_add_f16_e32 v48, v53, v48
	v_sub_f16_e32 v53, v179, v62
	v_add_f16_e32 v45, v47, v45
	v_sub_f16_e32 v47, v185, v61
	v_mul_f16_e32 v195, 0x3b76, v54
	v_mul_f16_e32 v201, 0x39e9, v56
	v_add_f16_e32 v225, v228, v225
	v_mul_f16_sdwa v228, v42, s30 dst_sel:DWORD dst_unused:UNUSED_PAD src0_sel:WORD_1 src1_sel:DWORD
	v_add_f16_e32 v129, v131, v129
	v_fma_f16 v131, v52, s16, v138
	v_add_f16_e32 v48, v53, v48
	v_sub_f16_e32 v53, v187, v64
	v_add_f16_e32 v45, v47, v45
	v_sub_f16_e32 v47, v193, v63
	v_mul_f16_e32 v203, 0xb8d2, v56
	v_fma_f16 v229, v44, s23, v228
	v_add_f16_e32 v129, v131, v129
	v_fma_f16 v131, v55, s6, v139
	v_add_f16_e32 v48, v53, v48
	v_sub_f16_e32 v53, v195, v70
	v_add_f16_e32 v45, v47, v45
	v_sub_f16_e32 v47, v201, v71
	v_add_f16_e32 v225, v229, v225
	v_mul_f16_sdwa v229, v43, s29 dst_sel:DWORD dst_unused:UNUSED_PAD src0_sel:WORD_1 src1_sel:DWORD
	v_add_f16_e32 v129, v131, v129
	v_fma_f16 v131, v36, s15, -v224
	v_add_f16_e32 v48, v53, v48
	v_sub_f16_e32 v53, v203, v82
	v_add_f16_e32 v45, v47, v45
	v_add_f16_e32 v47, v77, v144
	v_fma_f16 v230, v46, s20, v229
	v_add_f16_e32 v131, v14, v131
	v_fma_f16 v133, v39, s19, -v226
	v_add_f16_e32 v48, v53, v48
	v_add_f16_e32 v53, v87, v146
	v_add_f16_sdwa v47, v14, v47 dst_sel:DWORD dst_unused:UNUSED_PAD src0_sel:WORD_1 src1_sel:DWORD
	v_add_f16_e32 v51, v78, v152
	v_add_f16_e32 v225, v230, v225
	v_mul_f16_sdwa v230, v49, s9 dst_sel:DWORD dst_unused:UNUSED_PAD src0_sel:WORD_1 src1_sel:DWORD
	v_add_f16_e32 v131, v133, v131
	v_fma_f16 v133, v41, s7, -v227
	v_add_f16_sdwa v53, v14, v53 dst_sel:DWORD dst_unused:UNUSED_PAD src0_sel:WORD_1 src1_sel:DWORD
	v_add_f16_e32 v57, v89, v154
	v_add_f16_e32 v47, v51, v47
	;; [unrolled: 1-line block ×3, first 2 shown]
	v_fma_f16 v231, v50, s14, v230
	v_add_f16_e32 v131, v133, v131
	v_fma_f16 v133, v44, s23, -v228
	v_add_f16_e32 v53, v57, v53
	v_add_f16_e32 v57, v95, v162
	;; [unrolled: 1-line block ×5, first 2 shown]
	v_mul_f16_sdwa v231, v52, s16 dst_sel:DWORD dst_unused:UNUSED_PAD src0_sel:WORD_1 src1_sel:DWORD
	v_add_f16_e32 v131, v133, v131
	v_fma_f16 v133, v46, s20, -v229
	v_add_f16_e32 v53, v57, v53
	v_add_f16_e32 v57, v100, v170
	;; [unrolled: 1-line block ×4, first 2 shown]
	v_fma_f16 v232, v54, s17, v231
	v_add_f16_e32 v131, v133, v131
	v_fma_f16 v133, v50, s14, -v230
	v_add_f16_e32 v53, v57, v53
	v_add_f16_e32 v57, v108, v178
	v_add_f16_e32 v47, v51, v47
	v_add_f16_e32 v51, v98, v184
	v_add_f16_e32 v225, v232, v225
	v_mul_f16_sdwa v232, v55, s6 dst_sel:DWORD dst_unused:UNUSED_PAD src0_sel:WORD_1 src1_sel:DWORD
	v_add_f16_e32 v131, v133, v131
	v_fma_f16 v133, v54, s17, -v231
	v_add_f16_e32 v53, v57, v53
	v_add_f16_e32 v57, v113, v186
	;; [unrolled: 1-line block ×4, first 2 shown]
	v_mul_f16_e32 v143, 0x3722, v36
	v_add_f16_e32 v131, v133, v131
	v_fma_f16 v133, v56, s8, -v232
	v_add_f16_e32 v53, v57, v53
	v_add_f16_e32 v57, v125, v194
	;; [unrolled: 1-line block ×4, first 2 shown]
	v_mul_f16_e32 v151, 0xb8d2, v39
	v_add_f16_e32 v131, v133, v131
	v_fma_f16 v133, v35, s24, v205
	v_add_f16_e32 v53, v57, v53
	v_add_f16_e32 v57, v132, v202
	;; [unrolled: 1-line block ×3, first 2 shown]
	v_sub_f16_e32 v51, v143, v73
	v_mul_f16_e32 v159, 0xbbdd, v41
	v_add_f16_sdwa v133, v14, v133 dst_sel:DWORD dst_unused:UNUSED_PAD src0_sel:WORD_1 src1_sel:DWORD
	v_fma_f16 v134, v38, s26, v207
	v_add_f16_e32 v53, v57, v53
	v_add_f16_e32 v51, v14, v51
	v_sub_f16_e32 v57, v151, v74
	v_mul_f16_e32 v167, 0xb461, v44
	v_add_f16_e32 v133, v134, v133
	v_fma_f16 v134, v40, s29, v208
	v_add_f16_e32 v51, v57, v51
	v_sub_f16_e32 v57, v159, v80
	v_mul_f16_e32 v175, 0x39e9, v46
	v_add_f16_e32 v133, v134, v133
	v_fma_f16 v134, v42, s22, v209
	;; [unrolled: 5-line block ×6, first 2 shown]
	v_add_f16_e32 v51, v57, v51
	v_sub_f16_e32 v57, v199, v123
	v_add_f16_e32 v133, v134, v133
	v_fma_f16 v134, v36, s23, -v214
	v_add_f16_e32 v97, v97, v148
	v_add_f16_e32 v51, v57, v51
	;; [unrolled: 1-line block ×3, first 2 shown]
	v_sub_f16_e32 v65, v141, v65
	v_alignbit_b32 v140, v14, v14, 16
	v_add_f16_e32 v134, v14, v134
	v_add_f16_sdwa v97, v14, v97 dst_sel:DWORD dst_unused:UNUSED_PAD src0_sel:WORD_1 src1_sel:DWORD
	v_add_f16_sdwa v57, v14, v57 dst_sel:DWORD dst_unused:UNUSED_PAD src0_sel:WORD_1 src1_sel:DWORD
	v_add_f16_e32 v65, v14, v65
	v_pk_add_f16 v14, v14, v15
	v_pk_add_f16 v14, v14, v16
	;; [unrolled: 1-line block ×6, first 2 shown]
	v_add_f16_e32 v58, v68, v150
	v_pk_add_f16 v14, v14, v25
	v_add_f16_e32 v57, v58, v57
	v_add_f16_e32 v58, v75, v158
	v_pk_add_f16 v14, v14, v26
	v_add_f16_e32 v57, v58, v57
	;; [unrolled: 3-line block ×6, first 2 shown]
	v_add_f16_e32 v58, v115, v198
	s_mov_b32 s25, 0xffff
	v_pk_add_f16 v14, v14, v19
	v_mul_f16_e32 v149, 0x39e9, v39
	v_add_f16_e32 v57, v58, v57
	v_bfi_b32 v58, s25, v101, v116
	v_pk_add_f16 v12, v14, v12
	v_mul_f16_e32 v157, 0x3722, v41
	v_bfi_b32 v59, s25, v102, v117
	v_sub_f16_e32 v66, v149, v66
	v_pk_add_f16 v12, v12, v13
	v_pk_add_f16 v13, v140, v58
	v_mul_f16_e32 v165, 0x2de8, v44
	v_bfi_b32 v60, s25, v103, v118
	v_add_f16_e32 v65, v66, v65
	v_sub_f16_e32 v66, v157, v69
	v_pk_add_f16 v13, v59, v13
	v_mul_f16_e32 v173, 0xb461, v46
	v_fma_f16 v136, v39, s8, -v216
	v_add_f16_e32 v99, v99, v156
	v_bfi_b32 v61, s25, v104, v119
	v_add_f16_e32 v65, v66, v65
	v_sub_f16_e32 v66, v165, v72
	v_pk_add_f16 v13, v60, v13
	v_mul_f16_e32 v181, 0xb8d2, v50
	v_add_f16_e32 v134, v136, v134
	v_fma_f16 v136, v41, s20, -v217
	v_add_f16_e32 v97, v99, v97
	v_add_f16_e32 v99, v110, v164
	v_bfi_b32 v62, s25, v105, v120
	v_add_f16_e32 v65, v66, v65
	v_sub_f16_e32 v66, v173, v76
	v_pk_add_f16 v13, v61, v13
	v_mul_f16_e32 v189, 0xbacd, v54
	v_add_f16_e32 v134, v136, v134
	v_fma_f16 v136, v44, s15, -v218
	v_add_f16_e32 v97, v99, v97
	;; [unrolled: 9-line block ×3, first 2 shown]
	v_add_f16_e32 v99, v126, v180
	v_bfi_b32 v64, s25, v109, v122
	v_add_f16_e32 v65, v66, v65
	v_sub_f16_e32 v66, v189, v86
	v_pk_add_f16 v13, v63, v13
	v_add_f16_e32 v134, v136, v134
	v_fma_f16 v136, v50, s17, -v220
	v_add_f16_e32 v97, v99, v97
	v_add_f16_e32 v99, v127, v188
	v_bfi_b32 v67, s25, v111, v124
	v_add_f16_e32 v65, v66, v65
	v_sub_f16_e32 v66, v197, v112
	v_pk_add_f16 v13, v64, v13
	v_add_f16_e32 v134, v136, v134
	v_fma_f16 v136, v54, s14, -v221
	v_add_f16_e32 v97, v99, v97
	v_add_f16_e32 v99, v130, v196
	;; [unrolled: 1-line block ×3, first 2 shown]
	v_pk_add_f16 v13, v67, v13
	v_add_f16_e32 v134, v136, v134
	v_fma_f16 v136, v56, s19, -v222
	v_add_f16_e32 v97, v99, v97
	v_add_f16_e32 v99, v135, v204
	v_lshl_add_u32 v15, v3, 6, v0
	v_alignbit_b32 v14, v57, v13, 16
	v_pack_b32_f16 v13, v65, v13
	v_add_f16_e32 v134, v136, v134
	v_add_f16_e32 v97, v99, v97
	ds_write2_b32 v15, v13, v14 offset0:1 offset1:2
	v_pack_b32_f16 v13, v45, v53
	v_pack_b32_f16 v14, v51, v47
	ds_write2_b32 v15, v14, v13 offset0:3 offset1:4
	v_pack_b32_f16 v13, v48, v97
	v_pack_b32_f16 v14, v134, v133
	v_pk_add_f16 v12, v12, v37
	ds_write2_b32 v15, v13, v14 offset0:5 offset1:6
	v_pack_b32_f16 v13, v131, v129
	ds_write2_b32 v15, v12, v13 offset1:7
	v_pk_mul_f16 v12, v36, s14 op_sel_hi:[1,0]
	v_pk_fma_f16 v13, v35, s9, v12 op_sel:[0,0,1] op_sel_hi:[1,0,0] neg_lo:[1,0,0] neg_hi:[1,0,0]
	v_pk_mul_f16 v14, v39, s20 op_sel_hi:[1,0]
	v_pk_add_f16 v13, v140, v13
	v_pk_fma_f16 v16, v38, s18, v14 op_sel:[0,0,1] op_sel_hi:[1,0,0] neg_lo:[1,0,0] neg_hi:[1,0,0]
	v_pk_add_f16 v13, v16, v13
	v_pk_mul_f16 v16, v41, s15 op_sel_hi:[1,0]
	v_pk_fma_f16 v17, v40, s22, v16 op_sel:[0,0,1] op_sel_hi:[1,0,0] neg_lo:[1,0,0] neg_hi:[1,0,0]
	v_pk_add_f16 v13, v17, v13
	v_pk_mul_f16 v17, v44, s17 op_sel_hi:[1,0]
	;; [unrolled: 3-line block ×3, first 2 shown]
	v_pk_fma_f16 v12, v35, s9, v12 op_sel:[0,0,1] op_sel_hi:[1,0,0]
	v_pk_fma_f16 v19, v43, s24, v18 op_sel:[0,0,1] op_sel_hi:[1,0,0] neg_lo:[1,0,0] neg_hi:[1,0,0]
	v_pk_add_f16 v12, v140, v12
	v_pk_fma_f16 v14, v38, s18, v14 op_sel:[0,0,1] op_sel_hi:[1,0,0]
	v_pk_add_f16 v13, v19, v13
	v_pk_mul_f16 v19, v50, s19 op_sel_hi:[1,0]
	v_pk_add_f16 v12, v14, v12
	v_pk_fma_f16 v14, v40, s22, v16 op_sel:[0,0,1] op_sel_hi:[1,0,0]
	v_pk_fma_f16 v20, v49, s31, v19 op_sel:[0,0,1] op_sel_hi:[1,0,0] neg_lo:[1,0,0] neg_hi:[1,0,0]
	v_pk_add_f16 v12, v14, v12
	v_pk_fma_f16 v14, v42, s16, v17 op_sel:[0,0,1] op_sel_hi:[1,0,0]
	v_pk_add_f16 v13, v20, v13
	v_pk_mul_f16 v20, v54, s8 op_sel_hi:[1,0]
	v_pk_add_f16 v12, v14, v12
	;; [unrolled: 7-line block ×3, first 2 shown]
	v_pk_fma_f16 v14, v52, s6, v20 op_sel:[0,0,1] op_sel_hi:[1,0,0]
	v_pk_fma_f16 v22, v55, s21, v21 op_sel:[0,0,1] op_sel_hi:[1,0,0] neg_lo:[1,0,0] neg_hi:[1,0,0]
	v_pk_add_f16 v12, v14, v12
	v_pk_fma_f16 v14, v55, s21, v21 op_sel:[0,0,1] op_sel_hi:[1,0,0]
	v_fma_f16 v233, v56, s8, v232
	v_pk_add_f16 v13, v22, v13
	v_pk_add_f16 v12, v14, v12
	v_add_f16_e32 v225, v233, v225
	v_alignbit_b32 v14, v13, v12, 16
	v_alignbit_b32 v12, v12, v13, 16
	ds_write2_b32 v15, v12, v14 offset0:8 offset1:9
	v_pack_b32_f16 v12, v215, v206
	v_pack_b32_f16 v13, v225, v223
	s_mov_b32 s6, 0x5040100
	ds_write2_b32 v15, v13, v12 offset0:10 offset1:11
	v_perm_b32 v12, v4, v8, s6
	v_perm_b32 v13, v29, v7, s6
	ds_write2_b32 v15, v13, v12 offset0:12 offset1:13
	v_perm_b32 v12, v28, v10, s6
	v_perm_b32 v13, v30, v9, s6
	ds_write2_b32 v15, v13, v12 offset0:14 offset1:15
	v_perm_b32 v12, v31, v11, s6
	ds_write_b32 v15, v12 offset:64
.LBB0_15:
	s_or_b64 exec, exec, s[4:5]
	s_movk_i32 s4, 0xf1
	v_mul_lo_u16_sdwa v12, v3, s4 dst_sel:DWORD dst_unused:UNUSED_PAD src0_sel:BYTE_0 src1_sel:DWORD
	v_lshrrev_b16_e32 v43, 12, v12
	v_mul_lo_u16_e32 v12, 17, v43
	v_add_u32_e32 v27, 0xaa, v3
	v_sub_u16_e32 v44, v3, v12
	v_mov_b32_e32 v45, 3
	s_mov_b32 s4, 0xf0f1
	v_mul_u32_u24_sdwa v12, v44, v45 dst_sel:DWORD dst_unused:UNUSED_PAD src0_sel:BYTE_0 src1_sel:DWORD
	v_mul_u32_u24_sdwa v46, v27, s4 dst_sel:DWORD dst_unused:UNUSED_PAD src0_sel:WORD_0 src1_sel:DWORD
	v_lshlrev_b32_e32 v12, 2, v12
	v_lshrrev_b32_e32 v47, 20, v46
	s_load_dwordx2 s[2:3], s[2:3], 0x0
	s_waitcnt lgkmcnt(0)
	s_barrier
	global_load_dwordx3 v[13:15], v12, s[12:13]
	v_mul_lo_u16_e32 v12, 17, v47
	v_add_u32_e32 v26, 0x154, v3
	v_sub_u16_e32 v48, v27, v12
	v_mul_u32_u24_e32 v12, 3, v48
	v_mul_u32_u24_sdwa v49, v26, s4 dst_sel:DWORD dst_unused:UNUSED_PAD src0_sel:WORD_0 src1_sel:DWORD
	v_lshlrev_b32_e32 v12, 2, v12
	v_lshrrev_b32_e32 v50, 20, v49
	global_load_dwordx3 v[16:18], v12, s[12:13]
	v_mul_lo_u16_e32 v12, 17, v50
	v_sub_u16_e32 v51, v26, v12
	v_mul_u32_u24_e32 v12, 3, v51
	v_lshlrev_b32_e32 v12, 2, v12
	global_load_dwordx3 v[19:21], v12, s[12:13]
	ds_read2_b32 v[22:23], v0 offset1:170
	v_add_u32_e32 v52, 0x400, v0
	v_add_u32_e32 v12, 0xf00, v0
	;; [unrolled: 1-line block ×3, first 2 shown]
	ds_read2_b32 v[24:25], v32 offset0:36 offset1:206
	ds_read2_b32 v[35:36], v34 offset0:40 offset1:210
	;; [unrolled: 1-line block ×5, first 2 shown]
	s_waitcnt lgkmcnt(4)
	v_lshrrev_b32_e32 v54, 16, v24
	v_lshrrev_b32_e32 v58, 16, v22
	s_waitcnt lgkmcnt(2)
	v_lshrrev_b32_e32 v60, 16, v38
	s_waitcnt lgkmcnt(1)
	v_lshrrev_b32_e32 v61, 16, v39
	s_waitcnt lgkmcnt(0)
	v_lshrrev_b32_e32 v62, 16, v42
	v_lshrrev_b32_e32 v55, 16, v36
	;; [unrolled: 1-line block ×6, first 2 shown]
	v_mul_u32_u24_e32 v43, 0x110, v43
	s_waitcnt vmcnt(0)
	s_barrier
	s_movk_i32 s5, 0x79
	v_cmp_gt_u32_e32 vcc, 34, v3
	v_mul_f16_sdwa v64, v13, v60 dst_sel:DWORD dst_unused:UNUSED_PAD src0_sel:WORD_1 src1_sel:DWORD
	v_mul_f16_sdwa v65, v13, v38 dst_sel:DWORD dst_unused:UNUSED_PAD src0_sel:WORD_1 src1_sel:DWORD
	;; [unrolled: 1-line block ×6, first 2 shown]
	v_fma_f16 v38, v13, v38, -v64
	v_fma_f16 v13, v13, v60, v65
	v_fma_f16 v39, v14, v39, -v66
	v_fma_f16 v14, v14, v61, v67
	;; [unrolled: 2-line block ×3, first 2 shown]
	v_mul_f16_sdwa v74, v54, v18 dst_sel:DWORD dst_unused:UNUSED_PAD src0_sel:DWORD src1_sel:WORD_1
	v_mul_f16_sdwa v75, v24, v18 dst_sel:DWORD dst_unused:UNUSED_PAD src0_sel:DWORD src1_sel:WORD_1
	v_sub_f16_e32 v39, v22, v39
	v_sub_f16_e32 v14, v58, v14
	;; [unrolled: 1-line block ×4, first 2 shown]
	v_mul_f16_sdwa v70, v16, v57 dst_sel:DWORD dst_unused:UNUSED_PAD src0_sel:WORD_1 src1_sel:DWORD
	v_mul_f16_sdwa v71, v16, v35 dst_sel:DWORD dst_unused:UNUSED_PAD src0_sel:WORD_1 src1_sel:DWORD
	;; [unrolled: 1-line block ×4, first 2 shown]
	v_mul_f16_sdwa v76, v55, v19 dst_sel:DWORD dst_unused:UNUSED_PAD src0_sel:DWORD src1_sel:WORD_1
	v_mul_f16_sdwa v77, v36, v19 dst_sel:DWORD dst_unused:UNUSED_PAD src0_sel:DWORD src1_sel:WORD_1
	v_fma_f16 v24, v24, v18, -v74
	v_fma_f16 v18, v54, v18, v75
	v_fma_f16 v22, v22, 2.0, -v39
	v_fma_f16 v54, v58, 2.0, -v14
	;; [unrolled: 1-line block ×4, first 2 shown]
	v_fma_f16 v35, v16, v35, -v70
	v_fma_f16 v16, v16, v57, v71
	v_fma_f16 v40, v17, v40, -v72
	v_fma_f16 v17, v17, v63, v73
	;; [unrolled: 2-line block ×3, first 2 shown]
	v_sub_f16_e32 v38, v22, v38
	v_sub_f16_e32 v13, v54, v13
	;; [unrolled: 1-line block ×3, first 2 shown]
	v_add_f16_e32 v42, v14, v42
	v_lshrrev_b32_e32 v55, 16, v23
	v_mov_b32_e32 v57, 2
	v_fma_f16 v22, v22, 2.0, -v38
	v_fma_f16 v54, v54, 2.0, -v13
	v_fma_f16 v39, v39, 2.0, -v15
	v_fma_f16 v14, v14, 2.0, -v42
	v_sub_f16_e32 v40, v23, v40
	v_sub_f16_e32 v17, v55, v17
	;; [unrolled: 1-line block ×4, first 2 shown]
	v_lshlrev_b32_sdwa v44, v57, v44 dst_sel:DWORD dst_unused:UNUSED_PAD src0_sel:DWORD src1_sel:BYTE_0
	v_mul_f16_sdwa v78, v59, v20 dst_sel:DWORD dst_unused:UNUSED_PAD src0_sel:DWORD src1_sel:WORD_1
	v_mul_f16_sdwa v79, v41, v20 dst_sel:DWORD dst_unused:UNUSED_PAD src0_sel:DWORD src1_sel:WORD_1
	;; [unrolled: 1-line block ×4, first 2 shown]
	v_fma_f16 v23, v23, 2.0, -v40
	v_fma_f16 v55, v55, 2.0, -v17
	;; [unrolled: 1-line block ×4, first 2 shown]
	v_add3_u32 v43, 0, v43, v44
	v_pack_b32_f16 v22, v22, v54
	v_pack_b32_f16 v14, v39, v14
	v_fma_f16 v41, v41, v20, -v78
	v_fma_f16 v20, v59, v20, v79
	v_fma_f16 v25, v25, v21, -v80
	v_fma_f16 v21, v56, v21, v81
	v_sub_f16_e32 v35, v23, v35
	v_sub_f16_e32 v16, v55, v16
	;; [unrolled: 1-line block ×3, first 2 shown]
	v_add_f16_e32 v24, v17, v24
	v_lshrrev_b32_e32 v56, 16, v37
	ds_write2_b32 v43, v22, v14 offset1:17
	v_pack_b32_f16 v13, v38, v13
	v_pack_b32_f16 v14, v15, v42
	v_fma_f16 v23, v23, 2.0, -v35
	v_fma_f16 v55, v55, 2.0, -v16
	;; [unrolled: 1-line block ×4, first 2 shown]
	v_sub_f16_e32 v41, v37, v41
	v_sub_f16_e32 v20, v56, v20
	;; [unrolled: 1-line block ×4, first 2 shown]
	ds_write2_b32 v43, v13, v14 offset0:34 offset1:51
	v_mul_u32_u24_e32 v13, 0x110, v47
	v_lshlrev_b32_e32 v14, 2, v48
	v_fma_f16 v37, v37, 2.0, -v41
	v_fma_f16 v56, v56, 2.0, -v20
	v_fma_f16 v36, v36, 2.0, -v25
	v_fma_f16 v19, v19, 2.0, -v21
	v_add3_u32 v13, 0, v13, v14
	v_pack_b32_f16 v14, v23, v55
	v_pack_b32_f16 v15, v40, v17
	v_sub_f16_e32 v36, v37, v36
	v_sub_f16_e32 v19, v56, v19
	;; [unrolled: 1-line block ×3, first 2 shown]
	v_add_f16_e32 v25, v20, v25
	ds_write2_b32 v13, v14, v15 offset1:17
	v_pack_b32_f16 v14, v35, v16
	v_pack_b32_f16 v15, v18, v24
	v_fma_f16 v37, v37, 2.0, -v36
	v_fma_f16 v56, v56, 2.0, -v19
	;; [unrolled: 1-line block ×4, first 2 shown]
	ds_write2_b32 v13, v14, v15 offset0:34 offset1:51
	v_mul_u32_u24_e32 v13, 0x110, v50
	v_lshlrev_b32_e32 v14, 2, v51
	v_add3_u32 v13, 0, v13, v14
	v_pack_b32_f16 v14, v37, v56
	v_pack_b32_f16 v15, v41, v20
	ds_write2_b32 v13, v14, v15 offset1:17
	v_pack_b32_f16 v14, v36, v19
	v_pack_b32_f16 v15, v21, v25
	ds_write2_b32 v13, v14, v15 offset0:34 offset1:51
	v_mul_lo_u16_sdwa v13, v3, s5 dst_sel:DWORD dst_unused:UNUSED_PAD src0_sel:BYTE_0 src1_sel:DWORD
	v_lshrrev_b16_e32 v40, 13, v13
	v_mul_lo_u16_e32 v13, 0x44, v40
	v_sub_u16_e32 v41, v3, v13
	v_lshlrev_b32_sdwa v13, v45, v41 dst_sel:DWORD dst_unused:UNUSED_PAD src0_sel:DWORD src1_sel:BYTE_0
	s_waitcnt lgkmcnt(0)
	s_barrier
	global_load_dwordx2 v[13:14], v13, s[12:13] offset:204
	v_lshrrev_b32_e32 v42, 22, v46
	v_mul_lo_u16_e32 v15, 0x44, v42
	v_sub_u16_e32 v43, v27, v15
	v_lshlrev_b32_e32 v15, 3, v43
	global_load_dwordx2 v[15:16], v15, s[12:13] offset:204
	v_lshrrev_b32_e32 v44, 22, v49
	v_mul_lo_u16_e32 v17, 0x44, v44
	v_sub_u16_e32 v45, v26, v17
	v_add_u32_e32 v19, 0x1fe, v3
	v_lshlrev_b32_e32 v17, 3, v45
	global_load_dwordx2 v[17:18], v17, s[12:13] offset:204
	v_mul_u32_u24_sdwa v20, v19, s4 dst_sel:DWORD dst_unused:UNUSED_PAD src0_sel:WORD_0 src1_sel:DWORD
	v_lshrrev_b32_e32 v46, 22, v20
	v_mul_lo_u16_e32 v20, 0x44, v46
	v_sub_u16_e32 v47, v19, v20
	v_lshlrev_b32_e32 v19, 3, v47
	global_load_dwordx2 v[19:20], v19, s[12:13] offset:204
	ds_read2_b32 v[21:22], v0 offset1:170
	ds_read2_b32 v[23:24], v34 offset0:40 offset1:210
	ds_read2_b32 v[25:26], v52 offset0:84 offset1:254
	;; [unrolled: 1-line block ×5, first 2 shown]
	s_waitcnt lgkmcnt(4)
	v_lshrrev_b32_e32 v54, 16, v23
	s_movk_i32 s4, 0x3aee
	s_waitcnt lgkmcnt(2)
	v_lshrrev_b32_e32 v50, 16, v34
	v_lshrrev_b32_e32 v53, 16, v35
	s_waitcnt lgkmcnt(0)
	v_lshrrev_b32_e32 v52, 16, v39
	v_lshrrev_b32_e32 v48, 16, v21
	s_mov_b32 s5, 0xbaee
	v_lshrrev_b32_e32 v32, 16, v22
	v_lshrrev_b32_e32 v49, 16, v25
	;; [unrolled: 1-line block ×3, first 2 shown]
	s_waitcnt vmcnt(0)
	s_barrier
	v_mul_f16_sdwa v55, v13, v54 dst_sel:DWORD dst_unused:UNUSED_PAD src0_sel:WORD_1 src1_sel:DWORD
	v_fma_f16 v55, v13, v23, -v55
	v_mul_f16_sdwa v23, v13, v23 dst_sel:DWORD dst_unused:UNUSED_PAD src0_sel:WORD_1 src1_sel:DWORD
	v_fma_f16 v13, v13, v54, v23
	v_lshrrev_b32_e32 v23, 16, v36
	v_mul_f16_sdwa v54, v14, v23 dst_sel:DWORD dst_unused:UNUSED_PAD src0_sel:WORD_1 src1_sel:DWORD
	v_fma_f16 v54, v14, v36, -v54
	v_mul_f16_sdwa v36, v14, v36 dst_sel:DWORD dst_unused:UNUSED_PAD src0_sel:WORD_1 src1_sel:DWORD
	v_fma_f16 v14, v14, v23, v36
	v_lshrrev_b32_e32 v23, 16, v24
	;; [unrolled: 5-line block ×4, first 2 shown]
	v_mul_f16_sdwa v37, v17, v23 dst_sel:DWORD dst_unused:UNUSED_PAD src0_sel:WORD_1 src1_sel:DWORD
	v_fma_f16 v37, v17, v38, -v37
	v_mul_f16_sdwa v38, v17, v38 dst_sel:DWORD dst_unused:UNUSED_PAD src0_sel:WORD_1 src1_sel:DWORD
	v_fma_f16 v17, v17, v23, v38
	v_mul_f16_sdwa v23, v50, v18 dst_sel:DWORD dst_unused:UNUSED_PAD src0_sel:DWORD src1_sel:WORD_1
	v_fma_f16 v23, v34, v18, -v23
	v_mul_f16_sdwa v34, v34, v18 dst_sel:DWORD dst_unused:UNUSED_PAD src0_sel:DWORD src1_sel:WORD_1
	v_fma_f16 v18, v50, v18, v34
	v_mul_f16_sdwa v34, v52, v19 dst_sel:DWORD dst_unused:UNUSED_PAD src0_sel:DWORD src1_sel:WORD_1
	v_mul_f16_sdwa v38, v39, v19 dst_sel:DWORD dst_unused:UNUSED_PAD src0_sel:DWORD src1_sel:WORD_1
	v_fma_f16 v34, v39, v19, -v34
	v_fma_f16 v19, v52, v19, v38
	v_mul_f16_sdwa v38, v53, v20 dst_sel:DWORD dst_unused:UNUSED_PAD src0_sel:DWORD src1_sel:WORD_1
	v_fma_f16 v38, v35, v20, -v38
	v_mul_f16_sdwa v35, v35, v20 dst_sel:DWORD dst_unused:UNUSED_PAD src0_sel:DWORD src1_sel:WORD_1
	v_add_f16_e32 v39, v55, v54
	v_fma_f16 v20, v53, v20, v35
	v_add_f16_e32 v35, v21, v55
	v_fma_f16 v21, v39, -0.5, v21
	v_sub_f16_e32 v39, v13, v14
	v_fma_f16 v50, v39, s4, v21
	v_fma_f16 v21, v39, s5, v21
	v_add_f16_e32 v39, v48, v13
	v_add_f16_e32 v13, v13, v14
	;; [unrolled: 1-line block ×3, first 2 shown]
	v_fma_f16 v13, v13, -0.5, v48
	v_sub_f16_e32 v14, v55, v54
	v_fma_f16 v48, v14, s5, v13
	v_fma_f16 v52, v14, s4, v13
	v_add_f16_e32 v13, v22, v36
	v_add_f16_e32 v53, v13, v24
	;; [unrolled: 1-line block ×3, first 2 shown]
	v_fma_f16 v13, v13, -0.5, v22
	v_sub_f16_e32 v14, v15, v16
	v_add_f16_e32 v35, v35, v54
	v_fma_f16 v22, v14, s4, v13
	v_fma_f16 v54, v14, s5, v13
	v_add_f16_e32 v13, v32, v15
	v_add_f16_e32 v55, v13, v16
	v_add_f16_e32 v13, v15, v16
	v_fma_f16 v13, v13, -0.5, v32
	v_sub_f16_e32 v14, v36, v24
	v_fma_f16 v15, v14, s5, v13
	v_fma_f16 v16, v14, s4, v13
	v_add_f16_e32 v13, v25, v37
	v_add_f16_e32 v24, v13, v23
	v_add_f16_e32 v13, v37, v23
	v_fma_f16 v13, v13, -0.5, v25
	v_sub_f16_e32 v14, v17, v18
	;; [unrolled: 7-line block ×5, first 2 shown]
	v_fma_f16 v32, v20, s5, v19
	v_fma_f16 v34, v20, s4, v19
	v_mul_u32_u24_e32 v19, 0x330, v40
	v_lshlrev_b32_sdwa v20, v57, v41 dst_sel:DWORD dst_unused:UNUSED_PAD src0_sel:DWORD src1_sel:BYTE_0
	v_add3_u32 v19, 0, v19, v20
	v_pack_b32_f16 v20, v35, v39
	v_pack_b32_f16 v35, v50, v48
	ds_write2_b32 v19, v20, v35 offset1:68
	v_pack_b32_f16 v20, v21, v52
	ds_write_b32 v19, v20 offset:544
	v_mul_u32_u24_e32 v19, 0x330, v42
	v_lshlrev_b32_e32 v20, 2, v43
	v_add3_u32 v19, 0, v19, v20
	v_pack_b32_f16 v20, v53, v55
	v_pack_b32_f16 v15, v22, v15
	ds_write2_b32 v19, v20, v15 offset1:68
	v_pack_b32_f16 v15, v54, v16
	ds_write_b32 v19, v15 offset:544
	v_mul_u32_u24_e32 v15, 0x330, v44
	v_lshlrev_b32_e32 v16, 2, v45
	;; [unrolled: 8-line block ×3, first 2 shown]
	v_add3_u32 v15, 0, v15, v16
	v_pack_b32_f16 v16, v23, v26
	v_pack_b32_f16 v17, v13, v32
	ds_write2_b32 v15, v16, v17 offset1:68
	v_pack_b32_f16 v16, v14, v34
	v_add_u32_e32 v37, 0xc00, v0
	v_add_u32_e32 v38, 0x1300, v0
	;; [unrolled: 1-line block ×3, first 2 shown]
	ds_write_b32 v15, v16 offset:544
	s_waitcnt lgkmcnt(0)
	s_barrier
	ds_read2_b32 v[17:18], v0 offset1:204
	ds_read2_b32 v[19:20], v33 offset0:24 offset1:228
	ds_read2_b32 v[21:22], v37 offset0:48 offset1:252
	;; [unrolled: 1-line block ×4, first 2 shown]
                                        ; implicit-def: $vgpr35
                                        ; implicit-def: $vgpr16
                                        ; implicit-def: $vgpr36
                                        ; implicit-def: $vgpr33
	s_and_saveexec_b64 s[4:5], vcc
	s_cbranch_execz .LBB0_17
; %bb.16:
	v_add_u32_e32 v4, 0x200, v0
	ds_read2_b32 v[13:14], v4 offset0:42 offset1:246
	v_add_u32_e32 v4, 0x900, v0
	v_add_u32_e32 v11, 0x1500, v0
	v_add_u32_e32 v15, 0x1c00, v0
	ds_read2_b32 v[7:8], v4 offset0:2 offset1:206
	ds_read2_b32 v[9:10], v12 offset0:26 offset1:230
	;; [unrolled: 1-line block ×4, first 2 shown]
	s_waitcnt lgkmcnt(4)
	v_lshrrev_b32_e32 v32, 16, v13
	v_lshrrev_b32_e32 v34, 16, v14
	s_waitcnt lgkmcnt(3)
	v_lshrrev_b32_e32 v29, 16, v7
	v_lshrrev_b32_e32 v4, 16, v8
	;; [unrolled: 3-line block ×5, first 2 shown]
.LBB0_17:
	s_or_b64 exec, exec, s[4:5]
	v_mul_u32_u24_e32 v40, 9, v3
	v_lshlrev_b32_e32 v48, 2, v40
	global_load_dwordx4 v[40:43], v48, s[12:13] offset:748
	global_load_dwordx4 v[44:47], v48, s[12:13] offset:764
	global_load_dword v49, v48, s[12:13] offset:780
	s_waitcnt lgkmcnt(1)
	v_lshrrev_b32_e32 v53, 16, v23
	v_lshrrev_b32_e32 v55, 16, v21
	s_waitcnt lgkmcnt(0)
	v_lshrrev_b32_e32 v51, 16, v25
	v_lshrrev_b32_e32 v57, 16, v19
	;; [unrolled: 1-line block ×8, first 2 shown]
	s_movk_i32 s6, 0x3b9c
	s_mov_b32 s9, 0xbb9c
	s_movk_i32 s7, 0x38b4
	s_mov_b32 s14, 0xb8b4
	s_movk_i32 s8, 0x34f2
	s_movk_i32 s15, 0x3a79
	s_waitcnt vmcnt(0)
	s_barrier
	v_mul_f16_sdwa v65, v43, v55 dst_sel:DWORD dst_unused:UNUSED_PAD src0_sel:WORD_1 src1_sel:DWORD
	v_mul_f16_sdwa v69, v45, v53 dst_sel:DWORD dst_unused:UNUSED_PAD src0_sel:WORD_1 src1_sel:DWORD
	;; [unrolled: 1-line block ×8, first 2 shown]
	v_fma_f16 v21, v43, v21, -v65
	v_fma_f16 v23, v45, v23, -v69
	v_mul_f16_sdwa v59, v40, v58 dst_sel:DWORD dst_unused:UNUSED_PAD src0_sel:WORD_1 src1_sel:DWORD
	v_mul_f16_sdwa v60, v40, v18 dst_sel:DWORD dst_unused:UNUSED_PAD src0_sel:WORD_1 src1_sel:DWORD
	;; [unrolled: 1-line block ×8, first 2 shown]
	v_fma_f16 v19, v41, v19, -v61
	v_fma_f16 v41, v41, v57, v62
	v_fma_f16 v25, v47, v25, -v73
	v_fma_f16 v47, v47, v51, v74
	v_add_f16_e32 v51, v21, v23
	v_mul_f16_sdwa v75, v50, v49 dst_sel:DWORD dst_unused:UNUSED_PAD src0_sel:DWORD src1_sel:WORD_1
	v_mul_f16_sdwa v76, v26, v49 dst_sel:DWORD dst_unused:UNUSED_PAD src0_sel:DWORD src1_sel:WORD_1
	v_fma_f16 v18, v40, v18, -v59
	v_fma_f16 v40, v40, v58, v60
	v_fma_f16 v20, v42, v20, -v63
	v_fma_f16 v42, v42, v56, v64
	v_fma_f16 v43, v43, v55, v66
	v_fma_f16 v22, v44, v22, -v67
	v_fma_f16 v44, v44, v54, v68
	;; [unrolled: 3-line block ×3, first 2 shown]
	v_sub_f16_e32 v52, v41, v47
	v_sub_f16_e32 v54, v19, v21
	;; [unrolled: 1-line block ×3, first 2 shown]
	v_add_f16_e32 v56, v19, v25
	v_sub_f16_e32 v57, v21, v19
	v_sub_f16_e32 v58, v23, v25
	v_add_f16_e32 v59, v48, v41
	v_fma_f16 v51, v51, -0.5, v17
	v_fma_f16 v26, v26, v49, -v75
	v_fma_f16 v49, v50, v49, v76
	v_add_f16_e32 v50, v17, v19
	v_sub_f16_e32 v53, v43, v45
	v_add_f16_e32 v54, v54, v55
	v_fma_f16 v17, v56, -0.5, v17
	v_add_f16_e32 v55, v57, v58
	v_add_f16_e32 v56, v59, v43
	v_fma_f16 v57, v52, s6, v51
	v_fma_f16 v51, v52, s9, v51
	v_add_f16_e32 v60, v43, v45
	v_add_f16_e32 v50, v50, v21
	v_fma_f16 v58, v53, s9, v17
	v_fma_f16 v17, v53, s6, v17
	v_add_f16_e32 v56, v56, v45
	v_fma_f16 v57, v53, s7, v57
	v_fma_f16 v51, v53, s14, v51
	;; [unrolled: 3-line block ×4, first 2 shown]
	v_fma_f16 v54, v60, -0.5, v48
	v_sub_f16_e32 v19, v19, v25
	v_add_f16_e32 v50, v50, v25
	v_fma_f16 v25, v19, s9, v54
	v_sub_f16_e32 v21, v21, v23
	v_fma_f16 v53, v55, s8, v53
	v_fma_f16 v17, v55, s8, v17
	;; [unrolled: 1-line block ×3, first 2 shown]
	v_sub_f16_e32 v25, v41, v43
	v_sub_f16_e32 v55, v47, v45
	v_fma_f16 v54, v19, s6, v54
	v_add_f16_e32 v25, v25, v55
	v_fma_f16 v54, v21, s7, v54
	v_fma_f16 v23, v25, s8, v23
	v_fma_f16 v25, v25, s8, v54
	v_add_f16_e32 v54, v41, v47
	v_fma_f16 v48, v54, -0.5, v48
	v_fma_f16 v54, v21, s6, v48
	v_sub_f16_e32 v41, v43, v41
	v_sub_f16_e32 v43, v45, v47
	v_fma_f16 v21, v21, s9, v48
	v_fma_f16 v54, v19, s14, v54
	v_add_f16_e32 v41, v41, v43
	v_fma_f16 v19, v19, s7, v21
	v_fma_f16 v43, v41, s8, v54
	;; [unrolled: 1-line block ×3, first 2 shown]
	v_add_f16_e32 v41, v22, v24
	v_fma_f16 v41, v41, -0.5, v18
	v_sub_f16_e32 v45, v42, v49
	v_fma_f16 v47, v45, s6, v41
	v_sub_f16_e32 v48, v44, v46
	v_sub_f16_e32 v54, v20, v22
	;; [unrolled: 1-line block ×3, first 2 shown]
	v_fma_f16 v41, v45, s9, v41
	v_fma_f16 v47, v48, s7, v47
	v_add_f16_e32 v54, v54, v55
	v_fma_f16 v41, v48, s14, v41
	v_fma_f16 v47, v54, s8, v47
	;; [unrolled: 1-line block ×3, first 2 shown]
	v_add_f16_e32 v54, v20, v26
	v_add_f16_e32 v21, v18, v20
	v_fma_f16 v18, v54, -0.5, v18
	v_add_f16_e32 v21, v21, v22
	v_fma_f16 v54, v48, s9, v18
	v_fma_f16 v18, v48, s6, v18
	v_add_f16_e32 v48, v44, v46
	v_add_f16_e32 v21, v21, v24
	v_sub_f16_e32 v55, v22, v20
	v_sub_f16_e32 v57, v24, v26
	v_fma_f16 v48, v48, -0.5, v40
	v_sub_f16_e32 v20, v20, v26
	v_add_f16_e32 v21, v21, v26
	v_fma_f16 v54, v45, s7, v54
	v_add_f16_e32 v55, v55, v57
	v_fma_f16 v18, v45, s14, v18
	v_fma_f16 v26, v20, s9, v48
	v_sub_f16_e32 v22, v22, v24
	v_fma_f16 v54, v55, s8, v54
	v_fma_f16 v18, v55, s8, v18
	;; [unrolled: 1-line block ×3, first 2 shown]
	v_sub_f16_e32 v26, v42, v44
	v_sub_f16_e32 v55, v49, v46
	v_fma_f16 v48, v20, s6, v48
	v_add_f16_e32 v26, v26, v55
	v_fma_f16 v48, v22, s7, v48
	v_fma_f16 v24, v26, s8, v24
	;; [unrolled: 1-line block ×3, first 2 shown]
	v_add_f16_e32 v48, v42, v49
	v_add_f16_e32 v45, v40, v42
	v_fma_f16 v40, v48, -0.5, v40
	v_add_f16_e32 v45, v45, v44
	v_fma_f16 v48, v22, s6, v40
	v_sub_f16_e32 v42, v44, v42
	v_sub_f16_e32 v44, v46, v49
	v_fma_f16 v48, v20, s14, v48
	v_add_f16_e32 v42, v42, v44
	v_fma_f16 v22, v22, s9, v40
	v_add_f16_e32 v45, v45, v46
	v_fma_f16 v44, v42, s8, v48
	v_fma_f16 v20, v20, s7, v22
	v_mul_f16_e32 v40, 0x38b4, v24
	v_add_f16_e32 v45, v45, v49
	v_fma_f16 v20, v42, s8, v20
	v_fma_f16 v40, v47, s15, v40
	v_mul_f16_e32 v46, 0x3b9c, v44
	v_mul_f16_e32 v49, 0x34f2, v18
	;; [unrolled: 1-line block ×4, first 2 shown]
	v_fma_f16 v46, v54, s8, v46
	v_fma_f16 v49, v20, s6, -v49
	v_fma_f16 v57, v26, s7, -v57
	v_fma_f16 v24, v24, s15, v47
	v_mul_f16_e32 v54, 0xbb9c, v54
	v_mul_f16_e32 v20, 0x34f2, v20
	;; [unrolled: 1-line block ×3, first 2 shown]
	v_add_f16_e32 v22, v50, v21
	v_add_f16_e32 v42, v56, v40
	;; [unrolled: 1-line block ×4, first 2 shown]
	v_fma_f16 v44, v44, s8, v54
	v_fma_f16 v18, v18, s9, -v20
	v_fma_f16 v26, v41, s14, -v26
	v_add_f16_e32 v48, v53, v46
	v_add_f16_e32 v55, v17, v49
	;; [unrolled: 1-line block ×5, first 2 shown]
	v_sub_f16_e32 v18, v19, v18
	v_sub_f16_e32 v19, v25, v26
	v_pack_b32_f16 v22, v22, v59
	v_pack_b32_f16 v25, v42, v47
	v_add_f16_e32 v58, v51, v57
	v_sub_f16_e32 v21, v50, v21
	v_sub_f16_e32 v45, v52, v45
	ds_write2_b32 v0, v22, v25 offset1:204
	v_pack_b32_f16 v22, v48, v54
	v_pack_b32_f16 v20, v55, v20
	v_add_u32_e32 v25, 0x600, v0
	v_sub_f16_e32 v40, v56, v40
	v_sub_f16_e32 v46, v53, v46
	;; [unrolled: 1-line block ×6, first 2 shown]
	ds_write2_b32 v25, v22, v20 offset0:24 offset1:228
	v_pack_b32_f16 v20, v58, v41
	v_pack_b32_f16 v21, v21, v45
	ds_write2_b32 v37, v20, v21 offset0:48 offset1:252
	v_pack_b32_f16 v20, v40, v23
	v_pack_b32_f16 v21, v46, v24
	v_pack_b32_f16 v17, v17, v18
	v_pack_b32_f16 v18, v49, v19
	ds_write2_b32 v38, v20, v21 offset0:8 offset1:212
	ds_write2_b32 v39, v17, v18 offset0:32 offset1:236
	s_and_saveexec_b64 s[4:5], vcc
	s_cbranch_execz .LBB0_19
; %bb.18:
	v_subrev_u32_e32 v17, 34, v3
	v_cndmask_b32_e32 v17, v17, v27, vcc
	v_mul_i32_i24_e32 v17, 9, v17
	v_mov_b32_e32 v18, 0
	v_lshlrev_b64 v[17:18], 2, v[17:18]
	v_mov_b32_e32 v19, s13
	v_add_co_u32_e32 v25, vcc, s12, v17
	v_addc_co_u32_e32 v26, vcc, v19, v18, vcc
	global_load_dwordx4 v[17:20], v[25:26], off offset:748
	global_load_dwordx4 v[21:24], v[25:26], off offset:764
	global_load_dword v27, v[25:26], off offset:780
	s_waitcnt vmcnt(2)
	v_mul_f16_sdwa v25, v7, v18 dst_sel:DWORD dst_unused:UNUSED_PAD src0_sel:DWORD src1_sel:WORD_1
	v_mul_f16_sdwa v26, v9, v20 dst_sel:DWORD dst_unused:UNUSED_PAD src0_sel:DWORD src1_sel:WORD_1
	s_waitcnt vmcnt(1)
	v_mul_f16_sdwa v37, v15, v24 dst_sel:DWORD dst_unused:UNUSED_PAD src0_sel:DWORD src1_sel:WORD_1
	v_mul_f16_sdwa v38, v11, v22 dst_sel:DWORD dst_unused:UNUSED_PAD src0_sel:DWORD src1_sel:WORD_1
	;; [unrolled: 1-line block ×8, first 2 shown]
	s_waitcnt vmcnt(0)
	v_mul_f16_sdwa v45, v35, v27 dst_sel:DWORD dst_unused:UNUSED_PAD src0_sel:DWORD src1_sel:WORD_1
	v_mul_f16_sdwa v46, v33, v23 dst_sel:DWORD dst_unused:UNUSED_PAD src0_sel:DWORD src1_sel:WORD_1
	;; [unrolled: 1-line block ×6, first 2 shown]
	v_fma_f16 v25, v29, v18, v25
	v_fma_f16 v26, v30, v20, v26
	;; [unrolled: 1-line block ×4, first 2 shown]
	v_mul_f16_sdwa v47, v34, v17 dst_sel:DWORD dst_unused:UNUSED_PAD src0_sel:DWORD src1_sel:WORD_1
	v_mul_f16_sdwa v52, v14, v17 dst_sel:DWORD dst_unused:UNUSED_PAD src0_sel:DWORD src1_sel:WORD_1
	v_fma_f16 v9, v9, v20, -v39
	v_fma_f16 v11, v11, v22, -v40
	;; [unrolled: 1-line block ×8, first 2 shown]
	v_fma_f16 v4, v4, v19, v48
	v_fma_f16 v18, v35, v27, v49
	;; [unrolled: 1-line block ×4, first 2 shown]
	v_sub_f16_e32 v21, v25, v26
	v_sub_f16_e32 v22, v29, v30
	v_add_f16_e32 v27, v26, v30
	v_fma_f16 v14, v14, v17, -v47
	v_fma_f16 v17, v34, v17, v52
	v_sub_f16_e32 v24, v7, v15
	v_sub_f16_e32 v28, v8, v10
	;; [unrolled: 1-line block ×7, first 2 shown]
	v_add_f16_e32 v21, v21, v22
	v_fma_f16 v22, v27, -0.5, v32
	v_sub_f16_e32 v49, v19, v4
	v_sub_f16_e32 v50, v20, v18
	;; [unrolled: 1-line block ×3, first 2 shown]
	v_add_f16_e32 v33, v10, v12
	v_sub_f16_e32 v34, v4, v18
	v_add_f16_e32 v40, v19, v20
	v_add_f16_e32 v27, v28, v31
	;; [unrolled: 1-line block ×4, first 2 shown]
	v_fma_f16 v42, v24, s6, v22
	v_add_f16_e32 v49, v49, v50
	v_add_f16_e32 v50, v4, v18
	v_fma_f16 v22, v24, s9, v22
	v_add_f16_e32 v4, v17, v4
	v_sub_f16_e32 v39, v8, v16
	v_sub_f16_e32 v44, v10, v8
	;; [unrolled: 1-line block ×3, first 2 shown]
	v_fma_f16 v28, v33, -0.5, v14
	v_fma_f16 v33, v40, -0.5, v17
	v_fma_f16 v42, v23, s7, v42
	v_fma_f16 v22, v23, s14, v22
	v_add_f16_e32 v4, v4, v19
	v_sub_f16_e32 v38, v10, v12
	v_add_f16_e32 v43, v25, v29
	v_add_f16_e32 v40, v44, v45
	v_fma_f16 v44, v39, s6, v33
	v_fma_f16 v42, v21, s8, v42
	;; [unrolled: 1-line block ×4, first 2 shown]
	v_add_f16_e32 v4, v4, v20
	v_sub_f16_e32 v35, v19, v20
	v_fma_f16 v37, v43, -0.5, v32
	v_fma_f16 v44, v38, s7, v44
	v_fma_f16 v22, v38, s14, v22
	v_add_f16_e32 v4, v4, v18
	v_sub_f16_e32 v18, v7, v9
	v_sub_f16_e32 v19, v15, v11
	v_add_f16_e32 v46, v8, v16
	v_fma_f16 v43, v34, s9, v28
	v_fma_f16 v45, v23, s9, v37
	;; [unrolled: 1-line block ×6, first 2 shown]
	v_add_f16_e32 v28, v32, v25
	v_add_f16_e32 v18, v18, v19
	;; [unrolled: 1-line block ×3, first 2 shown]
	v_sub_f16_e32 v31, v9, v7
	v_sub_f16_e32 v32, v11, v15
	v_fma_f16 v41, v46, -0.5, v14
	v_fma_f16 v45, v24, s7, v45
	v_fma_f16 v50, v50, -0.5, v17
	v_fma_f16 v37, v24, s14, v37
	v_fma_f16 v19, v19, -0.5, v13
	v_sub_f16_e32 v20, v25, v29
	v_add_f16_e32 v31, v31, v32
	v_add_f16_e32 v32, v7, v15
	v_fma_f16 v46, v35, s6, v41
	v_fma_f16 v45, v36, s8, v45
	;; [unrolled: 1-line block ×7, first 2 shown]
	v_add_f16_e32 v28, v28, v26
	v_fma_f16 v25, v20, s9, v19
	v_sub_f16_e32 v26, v26, v30
	v_fma_f16 v32, v32, -0.5, v13
	v_fma_f16 v19, v20, s6, v19
	v_add_f16_e32 v7, v13, v7
	v_add_f16_e32 v8, v14, v8
	v_fma_f16 v46, v34, s14, v46
	v_fma_f16 v51, v39, s7, v51
	;; [unrolled: 1-line block ×9, first 2 shown]
	v_add_f16_e32 v7, v7, v9
	v_add_f16_e32 v8, v8, v10
	v_fma_f16 v43, v35, s14, v43
	v_fma_f16 v46, v40, s8, v46
	;; [unrolled: 1-line block ×5, first 2 shown]
	v_mul_f16_e32 v24, 0xb8b4, v23
	v_add_f16_e32 v28, v28, v30
	v_fma_f16 v25, v18, s8, v25
	v_fma_f16 v33, v20, s14, v33
	;; [unrolled: 1-line block ×4, first 2 shown]
	v_mul_f16_e32 v19, 0x38b4, v22
	v_add_f16_e32 v7, v7, v11
	v_add_f16_e32 v8, v8, v12
	v_fma_f16 v43, v27, s8, v43
	v_mul_f16_e32 v52, 0x34f2, v51
	v_mul_f16_e32 v41, 0xbb9c, v40
	v_fma_f16 v24, v22, s15, v24
	v_add_f16_e32 v28, v28, v29
	v_fma_f16 v33, v31, s8, v33
	v_mul_f16_e32 v34, 0x34f2, v46
	v_fma_f16 v31, v31, s8, v32
	v_mul_f16_e32 v32, 0x3b9c, v37
	v_fma_f16 v19, v23, s15, v19
	v_add_f16_e32 v7, v7, v15
	v_add_f16_e32 v8, v8, v16
	v_mul_f16_e32 v47, 0x3a79, v44
	v_fma_f16 v52, v46, s9, -v52
	v_fma_f16 v41, v37, s8, v41
	v_sub_f16_e32 v17, v28, v4
	v_mul_f16_e32 v29, 0x3a79, v43
	v_fma_f16 v34, v51, s6, -v34
	v_fma_f16 v32, v40, s8, v32
	v_sub_f16_e32 v20, v18, v19
	v_sub_f16_e32 v9, v7, v8
	v_add_f16_e32 v13, v21, v24
	v_add_f16_e32 v4, v28, v4
	;; [unrolled: 1-line block ×4, first 2 shown]
	v_fma_f16 v47, v43, s14, -v47
	v_fma_f16 v29, v44, s7, -v29
	v_add_f16_e32 v11, v45, v52
	v_add_f16_e32 v12, v36, v41
	;; [unrolled: 1-line block ×4, first 2 shown]
	v_pack_b32_f16 v4, v7, v4
	v_pack_b32_f16 v7, v18, v13
	v_add_u32_e32 v8, 0x200, v0
	v_add_f16_e32 v10, v42, v47
	v_add_f16_e32 v14, v25, v29
	ds_write2_b32 v8, v4, v7 offset0:42 offset1:246
	v_pack_b32_f16 v4, v16, v12
	v_pack_b32_f16 v7, v15, v11
	v_add_u32_e32 v8, 0x900, v0
	v_sub_f16_e32 v49, v36, v41
	v_sub_f16_e32 v27, v21, v24
	;; [unrolled: 1-line block ×3, first 2 shown]
	ds_write2_b32 v8, v4, v7 offset0:2 offset1:206
	v_pack_b32_f16 v4, v14, v10
	v_pack_b32_f16 v7, v9, v17
	v_add_u32_e32 v8, 0xf00, v0
	v_sub_f16_e32 v48, v42, v47
	v_sub_f16_e32 v53, v45, v52
	;; [unrolled: 1-line block ×4, first 2 shown]
	ds_write2_b32 v8, v4, v7 offset0:26 offset1:230
	v_pack_b32_f16 v4, v20, v27
	v_pack_b32_f16 v7, v37, v49
	v_add_u32_e32 v8, 0x1500, v0
	ds_write2_b32 v8, v4, v7 offset0:50 offset1:254
	v_pack_b32_f16 v4, v35, v53
	v_pack_b32_f16 v7, v30, v48
	v_add_u32_e32 v8, 0x1c00, v0
	ds_write2_b32 v8, v4, v7 offset0:10 offset1:214
.LBB0_19:
	s_or_b64 exec, exec, s[4:5]
	s_waitcnt lgkmcnt(0)
	s_barrier
	ds_read_b32 v13, v0
	s_add_u32 s6, s12, 0x1f9c
	v_lshlrev_b32_e32 v4, 2, v3
	s_addc_u32 s7, s13, 0
	v_sub_u32_e32 v9, 0, v4
	v_cmp_ne_u32_e32 vcc, 0, v3
                                        ; implicit-def: $vgpr12
                                        ; implicit-def: $vgpr10
                                        ; implicit-def: $vgpr11
                                        ; implicit-def: $vgpr7_vgpr8
	s_and_saveexec_b64 s[4:5], vcc
	s_xor_b64 s[4:5], exec, s[4:5]
	s_cbranch_execz .LBB0_21
; %bb.20:
	v_mov_b32_e32 v4, 0
	v_lshlrev_b64 v[7:8], 2, v[3:4]
	v_mov_b32_e32 v10, s7
	v_add_co_u32_e32 v7, vcc, s6, v7
	v_addc_co_u32_e32 v8, vcc, v10, v8, vcc
	global_load_dword v7, v[7:8], off
	ds_read_b32 v8, v9 offset:8160
	s_mov_b32 s8, 0xffff
	s_waitcnt lgkmcnt(0)
	v_pk_add_f16 v10, v13, v8 neg_lo:[0,1] neg_hi:[0,1]
	v_pk_add_f16 v8, v8, v13
	v_bfi_b32 v11, s8, v10, v8
	v_bfi_b32 v8, s8, v8, v10
	v_pk_mul_f16 v10, v11, 0.5 op_sel_hi:[1,0]
	v_pk_mul_f16 v11, v8, 0.5 op_sel_hi:[1,0]
                                        ; implicit-def: $vgpr13
	s_waitcnt vmcnt(0)
	v_pk_mul_f16 v12, v7, v10 op_sel:[1,0]
	v_pk_mul_f16 v7, v7, v10 op_sel_hi:[0,1]
	v_pk_fma_f16 v8, v8, 0.5, v12 op_sel_hi:[1,0,1]
	v_sub_f16_e32 v10, v11, v12
	v_sub_f16_sdwa v11, v12, v11 dst_sel:DWORD dst_unused:UNUSED_PAD src0_sel:WORD_1 src1_sel:WORD_1
	v_pk_add_f16 v12, v8, v7 op_sel:[0,1] op_sel_hi:[1,0]
	v_pk_add_f16 v8, v8, v7 op_sel:[0,1] op_sel_hi:[1,0] neg_lo:[0,1] neg_hi:[0,1]
	v_sub_f16_sdwa v10, v10, v7 dst_sel:DWORD dst_unused:UNUSED_PAD src0_sel:DWORD src1_sel:WORD_1
	v_sub_f16_e32 v11, v11, v7
	v_bfi_b32 v12, s8, v12, v8
	v_mov_b32_e32 v8, v4
	v_mov_b32_e32 v7, v3
.LBB0_21:
	s_andn2_saveexec_b64 s[4:5], s[4:5]
	s_cbranch_execz .LBB0_23
; %bb.22:
	v_mov_b32_e32 v11, 0
	ds_read_u16 v4, v11 offset:4082
	s_waitcnt lgkmcnt(1)
	v_alignbit_b32 v12, s0, v13, 16
	v_mov_b32_e32 v7, 0
	v_pk_add_f16 v12, v12, v13
	v_sub_f16_sdwa v10, v13, v13 dst_sel:DWORD dst_unused:UNUSED_PAD src0_sel:DWORD src1_sel:WORD_1
	v_mov_b32_e32 v8, 0
	s_waitcnt lgkmcnt(0)
	v_xor_b32_e32 v4, 0x8000, v4
	v_pack_b32_f16 v12, v12, 0
	ds_write_b16 v11, v4 offset:4082
.LBB0_23:
	s_or_b64 exec, exec, s[4:5]
	v_lshlrev_b64 v[7:8], 2, v[7:8]
	v_mov_b32_e32 v4, s7
	v_add_co_u32_e32 v7, vcc, s6, v7
	v_addc_co_u32_e32 v8, vcc, v4, v8, vcc
	global_load_dword v4, v[7:8], off offset:680
	s_waitcnt lgkmcnt(0)
	global_load_dword v13, v[7:8], off offset:1360
	global_load_dword v14, v[7:8], off offset:2040
	ds_write_b16 v9, v11 offset:8162
	ds_write_b32 v0, v12
	ds_write_b16 v9, v10 offset:8160
	ds_read_b32 v10, v0 offset:680
	ds_read_b32 v11, v9 offset:7480
	global_load_dword v12, v[7:8], off offset:2720
	global_load_dword v15, v[7:8], off offset:3400
	s_mov_b32 s4, 0xffff
	s_waitcnt lgkmcnt(0)
	v_pk_add_f16 v7, v10, v11 neg_lo:[0,1] neg_hi:[0,1]
	v_pk_add_f16 v8, v10, v11
	v_bfi_b32 v10, s4, v7, v8
	v_bfi_b32 v7, s4, v8, v7
	v_pk_mul_f16 v8, v10, 0.5 op_sel_hi:[1,0]
	v_pk_mul_f16 v10, v7, 0.5 op_sel_hi:[1,0]
	s_waitcnt vmcnt(4)
	v_pk_mul_f16 v11, v4, v8 op_sel:[1,0]
	v_pk_mul_f16 v4, v4, v8 op_sel_hi:[0,1]
	v_pk_fma_f16 v7, v7, 0.5, v11 op_sel_hi:[1,0,1]
	v_sub_f16_e32 v8, v10, v11
	v_sub_f16_sdwa v10, v11, v10 dst_sel:DWORD dst_unused:UNUSED_PAD src0_sel:WORD_1 src1_sel:WORD_1
	v_pk_add_f16 v11, v7, v4 op_sel:[0,1] op_sel_hi:[1,0]
	v_pk_add_f16 v7, v7, v4 op_sel:[0,1] op_sel_hi:[1,0] neg_lo:[0,1] neg_hi:[0,1]
	v_sub_f16_sdwa v8, v8, v4 dst_sel:DWORD dst_unused:UNUSED_PAD src0_sel:DWORD src1_sel:WORD_1
	v_sub_f16_e32 v4, v10, v4
	v_bfi_b32 v7, s4, v11, v7
	ds_write_b16 v9, v4 offset:7482
	ds_write_b32 v0, v7 offset:680
	ds_write_b16 v9, v8 offset:7480
	ds_read_b32 v4, v0 offset:1360
	ds_read_b32 v7, v9 offset:6800
	s_waitcnt lgkmcnt(0)
	v_pk_add_f16 v8, v4, v7 neg_lo:[0,1] neg_hi:[0,1]
	v_pk_add_f16 v4, v4, v7
	v_bfi_b32 v7, s4, v8, v4
	v_bfi_b32 v4, s4, v4, v8
	v_pk_mul_f16 v7, v7, 0.5 op_sel_hi:[1,0]
	v_pk_mul_f16 v8, v4, 0.5 op_sel_hi:[1,0]
	s_waitcnt vmcnt(3)
	v_pk_mul_f16 v10, v13, v7 op_sel:[1,0]
	v_pk_mul_f16 v7, v13, v7 op_sel_hi:[0,1]
	v_pk_fma_f16 v4, v4, 0.5, v10 op_sel_hi:[1,0,1]
	v_sub_f16_e32 v11, v8, v10
	v_sub_f16_sdwa v8, v10, v8 dst_sel:DWORD dst_unused:UNUSED_PAD src0_sel:WORD_1 src1_sel:WORD_1
	v_pk_add_f16 v10, v4, v7 op_sel:[0,1] op_sel_hi:[1,0]
	v_pk_add_f16 v4, v4, v7 op_sel:[0,1] op_sel_hi:[1,0] neg_lo:[0,1] neg_hi:[0,1]
	v_sub_f16_sdwa v11, v11, v7 dst_sel:DWORD dst_unused:UNUSED_PAD src0_sel:DWORD src1_sel:WORD_1
	v_sub_f16_e32 v7, v8, v7
	v_bfi_b32 v4, s4, v10, v4
	ds_write_b16 v9, v7 offset:6802
	ds_write_b32 v0, v4 offset:1360
	ds_write_b16 v9, v11 offset:6800
	ds_read_b32 v4, v0 offset:2040
	ds_read_b32 v7, v9 offset:6120
	;; [unrolled: 23-line block ×4, first 2 shown]
	s_waitcnt lgkmcnt(0)
	v_pk_add_f16 v8, v4, v7 neg_lo:[0,1] neg_hi:[0,1]
	v_pk_add_f16 v4, v4, v7
	v_bfi_b32 v7, s4, v8, v4
	v_bfi_b32 v4, s4, v4, v8
	v_pk_mul_f16 v7, v7, 0.5 op_sel_hi:[1,0]
	v_pk_mul_f16 v4, v4, 0.5 op_sel_hi:[1,0]
	s_waitcnt vmcnt(0)
	v_pk_fma_f16 v8, v15, v7, v4 op_sel:[1,0,0]
	v_pk_mul_f16 v10, v15, v7 op_sel_hi:[0,1]
	v_pk_fma_f16 v11, v15, v7, v4 op_sel:[1,0,0] neg_lo:[1,0,0] neg_hi:[1,0,0]
	v_pk_fma_f16 v4, v15, v7, v4 op_sel:[1,0,0] neg_lo:[0,0,1] neg_hi:[0,0,1]
	v_pk_add_f16 v7, v8, v10 op_sel:[0,1] op_sel_hi:[1,0]
	v_pk_add_f16 v8, v8, v10 op_sel:[0,1] op_sel_hi:[1,0] neg_lo:[0,1] neg_hi:[0,1]
	v_pk_add_f16 v11, v11, v10 op_sel:[0,1] op_sel_hi:[1,0] neg_lo:[0,1] neg_hi:[0,1]
	;; [unrolled: 1-line block ×3, first 2 shown]
	v_bfi_b32 v7, s4, v7, v8
	v_bfi_b32 v4, s4, v11, v4
	ds_write_b32 v0, v7 offset:3400
	ds_write_b32 v9, v4 offset:4760
	s_waitcnt lgkmcnt(0)
	s_barrier
	s_and_saveexec_b64 s[4:5], s[0:1]
	s_cbranch_execz .LBB0_26
; %bb.24:
	v_mul_lo_u32 v0, s3, v5
	v_mul_lo_u32 v4, s2, v6
	v_mad_u64_u32 v[5:6], s[0:1], s2, v5, 0
	v_lshl_add_u32 v9, v3, 2, 0
	v_lshlrev_b64 v[1:2], 2, v[1:2]
	v_add3_u32 v6, v6, v4, v0
	v_lshlrev_b64 v[5:6], 2, v[5:6]
	v_mov_b32_e32 v0, s11
	v_add_co_u32_e32 v5, vcc, s10, v5
	v_mov_b32_e32 v4, 0
	ds_read2_b32 v[7:8], v9 offset1:170
	v_addc_co_u32_e32 v0, vcc, v0, v6, vcc
	v_add_co_u32_e32 v1, vcc, v5, v1
	v_lshlrev_b64 v[5:6], 2, v[3:4]
	v_addc_co_u32_e32 v0, vcc, v0, v2, vcc
	v_add_co_u32_e32 v5, vcc, v1, v5
	v_addc_co_u32_e32 v6, vcc, v0, v6, vcc
	s_waitcnt lgkmcnt(0)
	global_store_dword v[5:6], v7, off
	v_add_u32_e32 v5, 0xaa, v3
	v_mov_b32_e32 v6, v4
	v_lshlrev_b64 v[5:6], 2, v[5:6]
	v_add_u32_e32 v2, 0x400, v9
	v_add_co_u32_e32 v5, vcc, v1, v5
	v_addc_co_u32_e32 v6, vcc, v0, v6, vcc
	global_store_dword v[5:6], v8, off
	v_add_u32_e32 v5, 0x154, v3
	v_mov_b32_e32 v6, v4
	ds_read2_b32 v[7:8], v2 offset0:84 offset1:254
	v_lshlrev_b64 v[5:6], 2, v[5:6]
	v_add_u32_e32 v2, 0xa00, v9
	v_add_co_u32_e32 v5, vcc, v1, v5
	v_addc_co_u32_e32 v6, vcc, v0, v6, vcc
	s_waitcnt lgkmcnt(0)
	global_store_dword v[5:6], v7, off
	v_add_u32_e32 v5, 0x1fe, v3
	v_mov_b32_e32 v6, v4
	v_lshlrev_b64 v[5:6], 2, v[5:6]
	s_movk_i32 s0, 0xa9
	v_add_co_u32_e32 v5, vcc, v1, v5
	v_addc_co_u32_e32 v6, vcc, v0, v6, vcc
	global_store_dword v[5:6], v8, off
	v_add_u32_e32 v5, 0x2a8, v3
	v_mov_b32_e32 v6, v4
	ds_read2_b32 v[7:8], v2 offset0:40 offset1:210
	v_lshlrev_b64 v[5:6], 2, v[5:6]
	v_add_u32_e32 v2, 0xf00, v9
	v_add_co_u32_e32 v5, vcc, v1, v5
	v_addc_co_u32_e32 v6, vcc, v0, v6, vcc
	s_waitcnt lgkmcnt(0)
	global_store_dword v[5:6], v7, off
	v_add_u32_e32 v5, 0x352, v3
	v_mov_b32_e32 v6, v4
	v_lshlrev_b64 v[5:6], 2, v[5:6]
	v_add_co_u32_e32 v5, vcc, v1, v5
	v_addc_co_u32_e32 v6, vcc, v0, v6, vcc
	global_store_dword v[5:6], v8, off
	v_add_u32_e32 v5, 0x3fc, v3
	v_mov_b32_e32 v6, v4
	ds_read2_b32 v[7:8], v2 offset0:60 offset1:230
	v_lshlrev_b64 v[5:6], 2, v[5:6]
	v_add_u32_e32 v2, 0x1400, v9
	v_add_co_u32_e32 v5, vcc, v1, v5
	v_addc_co_u32_e32 v6, vcc, v0, v6, vcc
	s_waitcnt lgkmcnt(0)
	global_store_dword v[5:6], v7, off
	v_add_u32_e32 v5, 0x4a6, v3
	v_mov_b32_e32 v6, v4
	v_lshlrev_b64 v[5:6], 2, v[5:6]
	;; [unrolled: 15-line block ×3, first 2 shown]
	v_add_co_u32_e32 v5, vcc, v1, v5
	v_addc_co_u32_e32 v6, vcc, v0, v6, vcc
	global_store_dword v[5:6], v8, off
	v_add_u32_e32 v5, 0x6a4, v3
	v_mov_b32_e32 v6, v4
	ds_read2_b32 v[7:8], v2 offset0:36 offset1:206
	v_lshlrev_b64 v[5:6], 2, v[5:6]
	v_add_co_u32_e32 v5, vcc, v1, v5
	v_addc_co_u32_e32 v6, vcc, v0, v6, vcc
	s_waitcnt lgkmcnt(0)
	global_store_dword v[5:6], v7, off
	v_add_u32_e32 v5, 0x74e, v3
	v_mov_b32_e32 v6, v4
	v_lshlrev_b64 v[5:6], 2, v[5:6]
	v_add_co_u32_e32 v5, vcc, v1, v5
	v_addc_co_u32_e32 v6, vcc, v0, v6, vcc
	v_cmp_eq_u32_e32 vcc, s0, v3
	global_store_dword v[5:6], v8, off
	s_and_b64 exec, exec, vcc
	s_cbranch_execz .LBB0_26
; %bb.25:
	ds_read_b32 v3, v4 offset:8160
	v_add_co_u32_e32 v1, vcc, 0x1000, v1
	v_addc_co_u32_e32 v2, vcc, 0, v0, vcc
	s_waitcnt lgkmcnt(0)
	global_store_dword v[1:2], v3, off offset:4064
.LBB0_26:
	s_endpgm
	.section	.rodata,"a",@progbits
	.p2align	6, 0x0
	.amdhsa_kernel fft_rtc_fwd_len2040_factors_17_4_3_10_wgs_170_tpt_170_halfLds_half_op_CI_CI_unitstride_sbrr_R2C_dirReg
		.amdhsa_group_segment_fixed_size 0
		.amdhsa_private_segment_fixed_size 0
		.amdhsa_kernarg_size 104
		.amdhsa_user_sgpr_count 6
		.amdhsa_user_sgpr_private_segment_buffer 1
		.amdhsa_user_sgpr_dispatch_ptr 0
		.amdhsa_user_sgpr_queue_ptr 0
		.amdhsa_user_sgpr_kernarg_segment_ptr 1
		.amdhsa_user_sgpr_dispatch_id 0
		.amdhsa_user_sgpr_flat_scratch_init 0
		.amdhsa_user_sgpr_private_segment_size 0
		.amdhsa_uses_dynamic_stack 0
		.amdhsa_system_sgpr_private_segment_wavefront_offset 0
		.amdhsa_system_sgpr_workgroup_id_x 1
		.amdhsa_system_sgpr_workgroup_id_y 0
		.amdhsa_system_sgpr_workgroup_id_z 0
		.amdhsa_system_sgpr_workgroup_info 0
		.amdhsa_system_vgpr_workitem_id 0
		.amdhsa_next_free_vgpr 234
		.amdhsa_next_free_sgpr 48
		.amdhsa_reserve_vcc 1
		.amdhsa_reserve_flat_scratch 0
		.amdhsa_float_round_mode_32 0
		.amdhsa_float_round_mode_16_64 0
		.amdhsa_float_denorm_mode_32 3
		.amdhsa_float_denorm_mode_16_64 3
		.amdhsa_dx10_clamp 1
		.amdhsa_ieee_mode 1
		.amdhsa_fp16_overflow 0
		.amdhsa_exception_fp_ieee_invalid_op 0
		.amdhsa_exception_fp_denorm_src 0
		.amdhsa_exception_fp_ieee_div_zero 0
		.amdhsa_exception_fp_ieee_overflow 0
		.amdhsa_exception_fp_ieee_underflow 0
		.amdhsa_exception_fp_ieee_inexact 0
		.amdhsa_exception_int_div_zero 0
	.end_amdhsa_kernel
	.text
.Lfunc_end0:
	.size	fft_rtc_fwd_len2040_factors_17_4_3_10_wgs_170_tpt_170_halfLds_half_op_CI_CI_unitstride_sbrr_R2C_dirReg, .Lfunc_end0-fft_rtc_fwd_len2040_factors_17_4_3_10_wgs_170_tpt_170_halfLds_half_op_CI_CI_unitstride_sbrr_R2C_dirReg
                                        ; -- End function
	.section	.AMDGPU.csdata,"",@progbits
; Kernel info:
; codeLenInByte = 13796
; NumSgprs: 52
; NumVgprs: 234
; ScratchSize: 0
; MemoryBound: 0
; FloatMode: 240
; IeeeMode: 1
; LDSByteSize: 0 bytes/workgroup (compile time only)
; SGPRBlocks: 6
; VGPRBlocks: 58
; NumSGPRsForWavesPerEU: 52
; NumVGPRsForWavesPerEU: 234
; Occupancy: 1
; WaveLimiterHint : 1
; COMPUTE_PGM_RSRC2:SCRATCH_EN: 0
; COMPUTE_PGM_RSRC2:USER_SGPR: 6
; COMPUTE_PGM_RSRC2:TRAP_HANDLER: 0
; COMPUTE_PGM_RSRC2:TGID_X_EN: 1
; COMPUTE_PGM_RSRC2:TGID_Y_EN: 0
; COMPUTE_PGM_RSRC2:TGID_Z_EN: 0
; COMPUTE_PGM_RSRC2:TIDIG_COMP_CNT: 0
	.type	__hip_cuid_fa14b08009804a0e,@object ; @__hip_cuid_fa14b08009804a0e
	.section	.bss,"aw",@nobits
	.globl	__hip_cuid_fa14b08009804a0e
__hip_cuid_fa14b08009804a0e:
	.byte	0                               ; 0x0
	.size	__hip_cuid_fa14b08009804a0e, 1

	.ident	"AMD clang version 19.0.0git (https://github.com/RadeonOpenCompute/llvm-project roc-6.4.0 25133 c7fe45cf4b819c5991fe208aaa96edf142730f1d)"
	.section	".note.GNU-stack","",@progbits
	.addrsig
	.addrsig_sym __hip_cuid_fa14b08009804a0e
	.amdgpu_metadata
---
amdhsa.kernels:
  - .args:
      - .actual_access:  read_only
        .address_space:  global
        .offset:         0
        .size:           8
        .value_kind:     global_buffer
      - .offset:         8
        .size:           8
        .value_kind:     by_value
      - .actual_access:  read_only
        .address_space:  global
        .offset:         16
        .size:           8
        .value_kind:     global_buffer
      - .actual_access:  read_only
        .address_space:  global
        .offset:         24
        .size:           8
        .value_kind:     global_buffer
      - .actual_access:  read_only
        .address_space:  global
        .offset:         32
        .size:           8
        .value_kind:     global_buffer
      - .offset:         40
        .size:           8
        .value_kind:     by_value
      - .actual_access:  read_only
        .address_space:  global
        .offset:         48
        .size:           8
        .value_kind:     global_buffer
      - .actual_access:  read_only
        .address_space:  global
        .offset:         56
        .size:           8
        .value_kind:     global_buffer
      - .offset:         64
        .size:           4
        .value_kind:     by_value
      - .actual_access:  read_only
        .address_space:  global
        .offset:         72
        .size:           8
        .value_kind:     global_buffer
      - .actual_access:  read_only
        .address_space:  global
        .offset:         80
        .size:           8
        .value_kind:     global_buffer
      - .actual_access:  read_only
        .address_space:  global
        .offset:         88
        .size:           8
        .value_kind:     global_buffer
      - .actual_access:  write_only
        .address_space:  global
        .offset:         96
        .size:           8
        .value_kind:     global_buffer
    .group_segment_fixed_size: 0
    .kernarg_segment_align: 8
    .kernarg_segment_size: 104
    .language:       OpenCL C
    .language_version:
      - 2
      - 0
    .max_flat_workgroup_size: 170
    .name:           fft_rtc_fwd_len2040_factors_17_4_3_10_wgs_170_tpt_170_halfLds_half_op_CI_CI_unitstride_sbrr_R2C_dirReg
    .private_segment_fixed_size: 0
    .sgpr_count:     52
    .sgpr_spill_count: 0
    .symbol:         fft_rtc_fwd_len2040_factors_17_4_3_10_wgs_170_tpt_170_halfLds_half_op_CI_CI_unitstride_sbrr_R2C_dirReg.kd
    .uniform_work_group_size: 1
    .uses_dynamic_stack: false
    .vgpr_count:     234
    .vgpr_spill_count: 0
    .wavefront_size: 64
amdhsa.target:   amdgcn-amd-amdhsa--gfx906
amdhsa.version:
  - 1
  - 2
...

	.end_amdgpu_metadata
